;; amdgpu-corpus repo=ROCm/rocFFT kind=compiled arch=gfx906 opt=O3
	.text
	.amdgcn_target "amdgcn-amd-amdhsa--gfx906"
	.amdhsa_code_object_version 6
	.protected	bluestein_single_fwd_len2400_dim1_sp_op_CI_CI ; -- Begin function bluestein_single_fwd_len2400_dim1_sp_op_CI_CI
	.globl	bluestein_single_fwd_len2400_dim1_sp_op_CI_CI
	.p2align	8
	.type	bluestein_single_fwd_len2400_dim1_sp_op_CI_CI,@function
bluestein_single_fwd_len2400_dim1_sp_op_CI_CI: ; @bluestein_single_fwd_len2400_dim1_sp_op_CI_CI
; %bb.0:
	s_load_dwordx4 s[8:11], s[4:5], 0x28
	v_mul_u32_u24_e32 v1, 0x112, v0
	v_add_u32_sdwa v72, s6, v1 dst_sel:DWORD dst_unused:UNUSED_PAD src0_sel:DWORD src1_sel:WORD_1
	v_mov_b32_e32 v73, 0
	s_waitcnt lgkmcnt(0)
	v_cmp_gt_u64_e32 vcc, s[8:9], v[72:73]
	s_and_saveexec_b64 s[0:1], vcc
	s_cbranch_execz .LBB0_23
; %bb.1:
	s_load_dwordx4 s[12:15], s[4:5], 0x18
	s_movk_i32 s6, 0xf0
	v_mul_lo_u16_sdwa v1, v1, s6 dst_sel:DWORD dst_unused:UNUSED_PAD src0_sel:WORD_1 src1_sel:DWORD
	v_sub_u16_e32 v100, v0, v1
	v_lshlrev_b32_e32 v99, 3, v100
	s_waitcnt lgkmcnt(0)
	s_load_dwordx4 s[0:3], s[12:13], 0x0
	s_waitcnt lgkmcnt(0)
	v_mad_u64_u32 v[0:1], s[6:7], s2, v72, 0
	v_mad_u64_u32 v[2:3], s[6:7], s0, v100, 0
	s_load_dwordx2 s[12:13], s[4:5], 0x0
	s_mul_i32 s6, s1, 0x258
	v_mad_u64_u32 v[4:5], s[2:3], s3, v72, v[1:2]
	s_mul_hi_u32 s7, s0, 0x258
	s_add_i32 s7, s7, s6
	v_mad_u64_u32 v[5:6], s[2:3], s1, v100, v[3:4]
	v_mov_b32_e32 v1, v4
	v_lshlrev_b64 v[0:1], 3, v[0:1]
	v_mov_b32_e32 v6, s11
	v_mov_b32_e32 v3, v5
	v_add_co_u32_e32 v4, vcc, s10, v0
	v_addc_co_u32_e32 v5, vcc, v6, v1, vcc
	v_lshlrev_b64 v[0:1], 3, v[2:3]
	s_waitcnt lgkmcnt(0)
	v_mov_b32_e32 v2, s13
	v_add_co_u32_e32 v0, vcc, v4, v0
	v_add_co_u32_e64 v64, s[2:3], s12, v99
	s_mul_i32 s6, s0, 0x258
	v_addc_co_u32_e32 v1, vcc, v5, v1, vcc
	v_addc_co_u32_e64 v65, vcc, 0, v2, s[2:3]
	s_lshl_b64 s[16:17], s[6:7], 3
	v_mov_b32_e32 v20, s17
	v_add_co_u32_e32 v2, vcc, s16, v0
	v_addc_co_u32_e32 v3, vcc, v1, v20, vcc
	s_movk_i32 s6, 0x1000
	v_add_co_u32_e32 v4, vcc, s6, v64
	v_addc_co_u32_e32 v5, vcc, 0, v65, vcc
	global_load_dwordx2 v[81:82], v99, s[12:13]
	global_load_dwordx2 v[6:7], v[0:1], off
	global_load_dwordx2 v[8:9], v[2:3], off
	v_add_co_u32_e32 v2, vcc, s16, v2
	v_addc_co_u32_e32 v3, vcc, v3, v20, vcc
	s_movk_i32 s6, 0x2000
	v_add_co_u32_e32 v0, vcc, s6, v64
	v_addc_co_u32_e32 v1, vcc, 0, v65, vcc
	v_add_co_u32_e32 v12, vcc, s16, v2
	v_addc_co_u32_e32 v13, vcc, v3, v20, vcc
	s_movk_i32 s6, 0x3000
	global_load_dwordx2 v[79:80], v[4:5], off offset:704
	global_load_dwordx2 v[10:11], v[2:3], off
	v_add_co_u32_e32 v2, vcc, s6, v64
	s_mul_hi_u32 s6, s0, 0xfffff9e8
	s_mulk_i32 s1, 0xf9e8
	s_sub_i32 s6, s6, s0
	global_load_dwordx2 v[77:78], v[0:1], off offset:1408
	s_add_i32 s1, s6, s1
	s_mulk_i32 s0, 0xf9e8
	v_addc_co_u32_e32 v3, vcc, 0, v65, vcc
	global_load_dwordx2 v[73:74], v[2:3], off offset:2112
	s_lshl_b64 s[18:19], s[0:1], 3
	global_load_dwordx2 v[14:15], v[12:13], off
	v_mov_b32_e32 v16, s19
	v_add_co_u32_e32 v12, vcc, s18, v12
	v_addc_co_u32_e32 v13, vcc, v13, v16, vcc
	global_load_dwordx2 v[16:17], v[12:13], off
	global_load_dwordx2 v[75:76], v99, s[12:13] offset:1920
	v_add_co_u32_e32 v12, vcc, s16, v12
	v_addc_co_u32_e32 v13, vcc, v13, v20, vcc
	global_load_dwordx2 v[18:19], v[12:13], off
	global_load_dwordx2 v[70:71], v[4:5], off offset:2624
	v_add_co_u32_e32 v4, vcc, s16, v12
	v_addc_co_u32_e32 v5, vcc, v13, v20, vcc
	global_load_dwordx2 v[12:13], v[4:5], off
	global_load_dwordx2 v[68:69], v[0:1], off offset:3328
	;; [unrolled: 4-line block ×3, first 2 shown]
	s_load_dwordx2 s[6:7], s[4:5], 0x38
	s_load_dwordx4 s[8:11], s[14:15], 0x0
	s_movk_i32 s0, 0x78
	v_cmp_gt_u16_e64 s[0:1], s0, v100
	s_waitcnt vmcnt(14)
	v_mul_f32_e32 v22, v7, v82
	v_fmac_f32_e32 v22, v6, v81
	v_mul_f32_e32 v6, v6, v82
	v_fma_f32 v23, v7, v81, -v6
	s_waitcnt vmcnt(12)
	v_mul_f32_e32 v6, v9, v80
	v_mul_f32_e32 v7, v8, v80
	v_fmac_f32_e32 v6, v8, v79
	v_fma_f32 v7, v9, v79, -v7
	ds_write_b64 v99, v[6:7] offset:4800
	s_waitcnt vmcnt(10)
	v_mul_f32_e32 v6, v11, v78
	v_mul_f32_e32 v7, v10, v78
	v_fmac_f32_e32 v6, v10, v77
	v_fma_f32 v7, v11, v77, -v7
	ds_write_b64 v99, v[6:7] offset:9600
	;; [unrolled: 6-line block ×3, first 2 shown]
	s_waitcnt vmcnt(6)
	v_mul_f32_e32 v6, v17, v76
	v_mul_f32_e32 v7, v16, v76
	v_fmac_f32_e32 v6, v16, v75
	v_fma_f32 v7, v17, v75, -v7
	ds_write2_b64 v99, v[22:23], v[6:7] offset1:240
	s_waitcnt vmcnt(4)
	v_mul_f32_e32 v6, v19, v71
	v_mul_f32_e32 v7, v18, v71
	v_fmac_f32_e32 v6, v18, v70
	v_fma_f32 v7, v19, v70, -v7
	ds_write_b64 v99, v[6:7] offset:6720
	s_waitcnt vmcnt(2)
	v_mul_f32_e32 v6, v13, v69
	v_mul_f32_e32 v7, v12, v69
	v_fmac_f32_e32 v6, v12, v68
	v_fma_f32 v7, v13, v68, -v7
	ds_write_b64 v99, v[6:7] offset:11520
	;; [unrolled: 6-line block ×3, first 2 shown]
	s_and_saveexec_b64 s[14:15], s[0:1]
	s_cbranch_execz .LBB0_3
; %bb.2:
	v_mov_b32_e32 v6, s19
	v_add_co_u32_e32 v4, vcc, s18, v4
	v_addc_co_u32_e32 v5, vcc, v5, v6, vcc
	global_load_dwordx2 v[6:7], v[4:5], off
	v_mov_b32_e32 v18, s17
	v_add_co_u32_e32 v4, vcc, s16, v4
	v_addc_co_u32_e32 v5, vcc, v5, v18, vcc
	global_load_dwordx2 v[8:9], v[4:5], off
	v_add_co_u32_e32 v4, vcc, s16, v4
	v_addc_co_u32_e32 v5, vcc, v5, v18, vcc
	global_load_dwordx2 v[10:11], v[64:65], off offset:3840
	global_load_dwordx2 v[12:13], v[4:5], off
	global_load_dwordx2 v[14:15], v[0:1], off offset:448
	global_load_dwordx2 v[16:17], v[2:3], off offset:1152
	v_add_co_u32_e32 v0, vcc, s16, v4
	v_addc_co_u32_e32 v1, vcc, v5, v18, vcc
	v_add_co_u32_e32 v2, vcc, 0x4000, v64
	v_addc_co_u32_e32 v3, vcc, 0, v65, vcc
	global_load_dwordx2 v[4:5], v[2:3], off offset:1856
	global_load_dwordx2 v[18:19], v[0:1], off
	s_waitcnt vmcnt(5)
	v_mul_f32_e32 v0, v7, v11
	v_mul_f32_e32 v1, v6, v11
	s_waitcnt vmcnt(3)
	v_mul_f32_e32 v2, v9, v15
	v_mul_f32_e32 v3, v8, v15
	v_fmac_f32_e32 v0, v6, v10
	v_fma_f32 v1, v7, v10, -v1
	v_fmac_f32_e32 v2, v8, v14
	v_fma_f32 v3, v9, v14, -v3
	ds_write_b64 v99, v[0:1] offset:3840
	s_waitcnt vmcnt(2)
	v_mul_f32_e32 v0, v13, v17
	v_mul_f32_e32 v1, v12, v17
	ds_write_b64 v99, v[2:3] offset:8640
	s_waitcnt vmcnt(0)
	v_mul_f32_e32 v2, v19, v5
	v_mul_f32_e32 v3, v18, v5
	v_fmac_f32_e32 v0, v12, v16
	v_fma_f32 v1, v13, v16, -v1
	v_fmac_f32_e32 v2, v18, v4
	v_fma_f32 v3, v19, v4, -v3
	ds_write_b64 v99, v[0:1] offset:13440
	ds_write_b64 v99, v[2:3] offset:18240
.LBB0_3:
	s_or_b64 exec, exec, s[14:15]
	v_add_u32_e32 v4, 0x1280, v99
	v_add_u32_e32 v8, 0x2580, v99
	v_add_u32_e32 v12, 0x3800, v99
	s_load_dwordx2 s[14:15], s[4:5], 0x8
	s_waitcnt lgkmcnt(0)
	s_barrier
	ds_read2_b64 v[0:3], v99 offset1:240
	ds_read2_b64 v[4:7], v4 offset0:8 offset1:248
	ds_read2_b64 v[8:11], v8 offset1:240
	ds_read2_b64 v[12:15], v12 offset0:8 offset1:248
                                        ; implicit-def: $vgpr20
                                        ; implicit-def: $vgpr22
                                        ; implicit-def: $vgpr16
                                        ; implicit-def: $vgpr18
	s_and_saveexec_b64 s[4:5], s[0:1]
	s_cbranch_execz .LBB0_5
; %bb.4:
	ds_read_b64 v[18:19], v99 offset:3840
	ds_read_b64 v[16:17], v99 offset:8640
	;; [unrolled: 1-line block ×4, first 2 shown]
.LBB0_5:
	s_or_b64 exec, exec, s[4:5]
	s_waitcnt lgkmcnt(1)
	v_sub_f32_e32 v8, v0, v8
	s_waitcnt lgkmcnt(0)
	v_sub_f32_e32 v12, v4, v12
	v_sub_f32_e32 v9, v1, v9
	v_fma_f32 v0, v0, 2.0, -v8
	v_sub_f32_e32 v13, v5, v13
	v_fma_f32 v4, v4, 2.0, -v12
	v_fma_f32 v1, v1, 2.0, -v9
	;; [unrolled: 1-line block ×3, first 2 shown]
	v_sub_f32_e32 v24, v0, v4
	v_sub_f32_e32 v25, v1, v5
	v_fma_f32 v28, v0, 2.0, -v24
	v_sub_f32_e32 v0, v2, v10
	v_sub_f32_e32 v10, v6, v14
	v_fma_f32 v29, v1, 2.0, -v25
	v_sub_f32_e32 v1, v3, v11
	v_fma_f32 v2, v2, 2.0, -v0
	;; [unrolled: 2-line block ×4, first 2 shown]
	v_fma_f32 v5, v7, 2.0, -v11
	v_sub_f32_e32 v4, v2, v4
	v_sub_f32_e32 v6, v0, v11
	s_movk_i32 s4, 0x1e0
	v_add_f32_e32 v27, v9, v12
	v_fma_f32 v30, v8, 2.0, -v26
	v_sub_f32_e32 v5, v3, v5
	v_fma_f32 v8, v2, 2.0, -v4
	v_add_f32_e32 v7, v1, v10
	v_fma_f32 v10, v0, 2.0, -v6
	v_sub_f32_e32 v0, v18, v22
	v_sub_f32_e32 v2, v19, v23
	;; [unrolled: 1-line block ×4, first 2 shown]
	v_add_co_u32_e32 v85, vcc, 0xf0, v100
	v_add_co_u32_e32 v32, vcc, s4, v100
	v_fma_f32 v31, v9, 2.0, -v27
	v_fma_f32 v9, v3, 2.0, -v5
	;; [unrolled: 1-line block ×7, first 2 shown]
	v_add_f32_e32 v51, v12, v2
	v_lshlrev_b16_e32 v12, 2, v100
	v_sub_f32_e32 v48, v1, v14
	v_sub_f32_e32 v49, v3, v15
	;; [unrolled: 1-line block ×3, first 2 shown]
	v_lshlrev_b32_e32 v102, 3, v12
	v_lshlrev_b32_e32 v103, 5, v85
	;; [unrolled: 1-line block ×3, first 2 shown]
	s_barrier
	ds_write_b128 v102, v[28:31]
	ds_write_b128 v102, v[24:27] offset:16
	ds_write_b128 v103, v[8:11]
	ds_write_b128 v103, v[4:7] offset:16
	s_and_saveexec_b64 s[4:5], s[0:1]
	s_cbranch_execz .LBB0_7
; %bb.6:
	v_fma_f32 v5, v2, 2.0, -v51
	v_fma_f32 v4, v0, 2.0, -v50
	v_fma_f32 v3, v3, 2.0, -v49
	v_fma_f32 v2, v1, 2.0, -v48
	ds_write_b128 v101, v[2:5]
	ds_write_b128 v101, v[48:51] offset:16
.LBB0_7:
	s_or_b64 exec, exec, s[4:5]
	v_mov_b32_e32 v37, s15
	v_and_b32_e32 v38, 3, v100
	s_movk_i32 s17, 0x48
	v_mov_b32_e32 v36, s14
	v_mad_u64_u32 v[16:17], s[4:5], v38, s17, v[36:37]
	s_waitcnt lgkmcnt(0)
	s_barrier
	global_load_dwordx4 v[12:15], v[16:17], off
	global_load_dwordx4 v[8:11], v[16:17], off offset:16
	global_load_dwordx4 v[4:7], v[16:17], off offset:32
	;; [unrolled: 1-line block ×3, first 2 shown]
	global_load_dwordx2 v[83:84], v[16:17], off offset:64
	v_add_u32_e32 v40, 0xf00, v99
	ds_read2_b64 v[16:19], v99 offset1:240
	v_add_u32_e32 v41, 0x1e00, v99
	v_add_u32_e32 v44, 0x2d00, v99
	;; [unrolled: 1-line block ×3, first 2 shown]
	ds_read2_b64 v[20:23], v40 offset1:240
	ds_read2_b64 v[24:27], v41 offset1:240
	;; [unrolled: 1-line block ×4, first 2 shown]
	s_mov_b32 s4, 0xbf737871
	s_mov_b32 s12, 0x3f737871
	;; [unrolled: 1-line block ×4, first 2 shown]
	s_movk_i32 s18, 0xcd
	s_waitcnt vmcnt(0) lgkmcnt(0)
	s_barrier
	v_mul_f32_e32 v39, v19, v13
	v_mul_f32_e32 v42, v18, v13
	;; [unrolled: 1-line block ×12, first 2 shown]
	v_fma_f32 v39, v18, v12, -v39
	v_fmac_f32_e32 v42, v19, v12
	v_fma_f32 v18, v20, v14, -v43
	v_fma_f32 v19, v22, v8, -v46
	;; [unrolled: 1-line block ×5, first 2 shown]
	v_mul_f32_e32 v56, v26, v5
	v_mul_f32_e32 v58, v28, v7
	;; [unrolled: 1-line block ×4, first 2 shown]
	v_fmac_f32_e32 v47, v23, v8
	v_fma_f32 v23, v30, v0, -v59
	v_fmac_f32_e32 v60, v31, v0
	v_sub_f32_e32 v30, v18, v20
	v_sub_f32_e32 v31, v24, v22
	v_add_f32_e32 v32, v18, v24
	v_mul_f32_e32 v55, v27, v5
	v_mul_f32_e32 v86, v34, v84
	v_fmac_f32_e32 v54, v25, v10
	v_fmac_f32_e32 v56, v27, v4
	;; [unrolled: 1-line block ×4, first 2 shown]
	v_fma_f32 v25, v34, v83, -v63
	v_add_f32_e32 v27, v20, v22
	v_sub_f32_e32 v33, v20, v18
	v_sub_f32_e32 v34, v22, v24
	v_add_f32_e32 v30, v30, v31
	v_fma_f32 v31, -0.5, v32, v16
	v_fmac_f32_e32 v45, v21, v14
	v_fma_f32 v21, v26, v4, -v55
	v_add_f32_e32 v26, v16, v18
	v_sub_f32_e32 v29, v54, v58
	v_fma_f32 v27, -0.5, v27, v16
	v_add_f32_e32 v16, v33, v34
	v_mov_b32_e32 v33, v31
	v_sub_f32_e32 v28, v45, v62
	v_fmac_f32_e32 v31, 0x3f737871, v29
	v_fmac_f32_e32 v33, 0xbf737871, v29
	v_fmac_f32_e32 v86, v35, v83
	v_add_f32_e32 v35, v17, v45
	v_fmac_f32_e32 v31, 0xbf167918, v28
	v_fmac_f32_e32 v33, 0x3f167918, v28
	v_mov_b32_e32 v32, v27
	v_fmac_f32_e32 v31, 0x3e9e377a, v16
	v_fmac_f32_e32 v33, 0x3e9e377a, v16
	v_add_f32_e32 v16, v35, v54
	v_fmac_f32_e32 v27, 0xbf737871, v28
	v_fmac_f32_e32 v32, 0x3f737871, v28
	v_add_f32_e32 v16, v16, v58
	;; [unrolled: 3-line block ×3, first 2 shown]
	v_add_f32_e32 v16, v54, v58
	v_fma_f32 v35, -0.5, v16, v17
	v_add_f32_e32 v26, v26, v20
	v_sub_f32_e32 v16, v18, v24
	v_mov_b32_e32 v43, v35
	v_add_f32_e32 v26, v26, v22
	v_fmac_f32_e32 v43, 0xbf737871, v16
	v_sub_f32_e32 v18, v20, v22
	v_sub_f32_e32 v20, v45, v54
	;; [unrolled: 1-line block ×3, first 2 shown]
	v_fmac_f32_e32 v35, 0x3f737871, v16
	v_fmac_f32_e32 v43, 0xbf167918, v18
	v_add_f32_e32 v20, v20, v22
	v_fmac_f32_e32 v35, 0x3f167918, v18
	v_fmac_f32_e32 v43, 0x3e9e377a, v20
	;; [unrolled: 1-line block ×3, first 2 shown]
	v_add_f32_e32 v20, v45, v62
	v_fma_f32 v46, -0.5, v20, v17
	v_mov_b32_e32 v53, v46
	v_fmac_f32_e32 v53, 0x3f737871, v18
	v_fmac_f32_e32 v46, 0xbf737871, v18
	;; [unrolled: 1-line block ×4, first 2 shown]
	v_add_f32_e32 v16, v39, v19
	v_add_f32_e32 v16, v16, v21
	;; [unrolled: 1-line block ×5, first 2 shown]
	v_fmac_f32_e32 v27, 0x3e9e377a, v30
	v_fmac_f32_e32 v32, 0x3e9e377a, v30
	v_sub_f32_e32 v17, v54, v45
	v_sub_f32_e32 v20, v58, v62
	v_fma_f32 v30, -0.5, v16, v39
	v_add_f32_e32 v17, v17, v20
	v_sub_f32_e32 v16, v47, v86
	v_mov_b32_e32 v34, v30
	v_fmac_f32_e32 v53, 0x3e9e377a, v17
	v_fmac_f32_e32 v46, 0x3e9e377a, v17
	;; [unrolled: 1-line block ×3, first 2 shown]
	v_sub_f32_e32 v17, v56, v60
	v_sub_f32_e32 v18, v19, v21
	;; [unrolled: 1-line block ×3, first 2 shown]
	v_fmac_f32_e32 v30, 0xbf737871, v16
	v_fmac_f32_e32 v34, 0x3f167918, v17
	v_add_f32_e32 v18, v18, v20
	v_fmac_f32_e32 v30, 0xbf167918, v17
	v_fmac_f32_e32 v34, 0x3e9e377a, v18
	;; [unrolled: 1-line block ×3, first 2 shown]
	v_add_f32_e32 v18, v19, v25
	v_fmac_f32_e32 v39, -0.5, v18
	v_mov_b32_e32 v45, v39
	v_fmac_f32_e32 v45, 0xbf737871, v17
	v_fmac_f32_e32 v39, 0x3f737871, v17
	;; [unrolled: 1-line block ×4, first 2 shown]
	v_add_f32_e32 v16, v42, v47
	v_add_f32_e32 v16, v16, v56
	;; [unrolled: 1-line block ×5, first 2 shown]
	v_sub_f32_e32 v18, v21, v19
	v_sub_f32_e32 v20, v23, v25
	v_fma_f32 v55, -0.5, v16, v42
	v_add_f32_e32 v18, v18, v20
	v_sub_f32_e32 v16, v19, v25
	v_mov_b32_e32 v19, v55
	v_fmac_f32_e32 v45, 0x3e9e377a, v18
	v_fmac_f32_e32 v39, 0x3e9e377a, v18
	;; [unrolled: 1-line block ×3, first 2 shown]
	v_sub_f32_e32 v17, v21, v23
	v_sub_f32_e32 v18, v47, v56
	;; [unrolled: 1-line block ×3, first 2 shown]
	v_fmac_f32_e32 v55, 0x3f737871, v16
	v_fmac_f32_e32 v19, 0xbf167918, v17
	v_add_f32_e32 v18, v18, v20
	v_fmac_f32_e32 v55, 0x3f167918, v17
	v_fmac_f32_e32 v19, 0x3e9e377a, v18
	v_fmac_f32_e32 v55, 0x3e9e377a, v18
	v_add_f32_e32 v18, v47, v86
	v_fmac_f32_e32 v42, -0.5, v18
	v_mov_b32_e32 v21, v42
	v_fmac_f32_e32 v21, 0x3f737871, v17
	v_sub_f32_e32 v18, v56, v47
	v_sub_f32_e32 v20, v60, v86
	v_fmac_f32_e32 v42, 0xbf737871, v17
	v_fmac_f32_e32 v21, 0xbf167918, v16
	v_add_f32_e32 v18, v18, v20
	v_fmac_f32_e32 v42, 0x3f167918, v16
	v_fmac_f32_e32 v21, 0x3e9e377a, v18
	v_fmac_f32_e32 v42, 0x3e9e377a, v18
	v_mul_f32_e32 v56, 0x3f737871, v21
	v_mul_f32_e32 v23, 0x3e9e377a, v42
	v_fmac_f32_e32 v56, 0x3e9e377a, v45
	v_mul_f32_e32 v17, 0x3e9e377a, v39
	v_fma_f32 v39, v39, s4, -v23
	v_mul_f32_e32 v25, 0x3f4f1bbd, v55
	v_add_f32_e32 v20, v33, v56
	v_fma_f32 v57, v42, s12, -v17
	v_mul_f32_e32 v17, 0x3f4f1bbd, v30
	v_add_f32_e32 v23, v46, v39
	v_fma_f32 v42, v30, s5, -v25
	v_sub_f32_e32 v30, v33, v56
	v_sub_f32_e32 v33, v46, v39
	v_lshrrev_b32_e32 v39, 2, v100
	v_mul_f32_e32 v47, 0x3f167918, v19
	v_mul_f32_e32 v59, 0xbf167918, v34
	v_mul_u32_u24_e32 v39, 40, v39
	v_add_f32_e32 v26, v26, v24
	v_fmac_f32_e32 v47, 0x3f4f1bbd, v34
	v_fmac_f32_e32 v59, 0x3f4f1bbd, v19
	v_mul_f32_e32 v45, 0xbf737871, v45
	v_or_b32_e32 v38, v39, v38
	v_add_f32_e32 v16, v26, v28
	v_add_f32_e32 v18, v32, v47
	v_fma_f32 v58, v55, s16, -v17
	v_add_f32_e32 v17, v29, v54
	v_add_f32_e32 v19, v43, v59
	v_fmac_f32_e32 v45, 0x3e9e377a, v21
	v_lshlrev_b32_e32 v104, 3, v38
	v_add_f32_e32 v22, v31, v57
	v_add_f32_e32 v24, v27, v58
	;; [unrolled: 1-line block ×4, first 2 shown]
	v_sub_f32_e32 v26, v26, v28
	v_sub_f32_e32 v28, v32, v47
	;; [unrolled: 1-line block ×8, first 2 shown]
	ds_write2_b64 v104, v[16:17], v[18:19] offset1:4
	ds_write2_b64 v104, v[20:21], v[22:23] offset0:8 offset1:12
	ds_write2_b64 v104, v[24:25], v[26:27] offset0:16 offset1:20
	;; [unrolled: 1-line block ×4, first 2 shown]
	v_mul_lo_u16_sdwa v16, v100, s18 dst_sel:DWORD dst_unused:UNUSED_PAD src0_sel:BYTE_0 src1_sel:DWORD
	v_lshrrev_b16_e32 v62, 13, v16
	v_mul_lo_u16_e32 v16, 40, v62
	v_sub_u16_e32 v16, v100, v16
	v_and_b32_e32 v63, 0xff, v16
	v_mad_u64_u32 v[16:17], s[18:19], v63, s17, v[36:37]
	s_waitcnt lgkmcnt(0)
	s_barrier
	global_load_dwordx4 v[36:39], v[16:17], off offset:288
	global_load_dwordx4 v[32:35], v[16:17], off offset:304
	;; [unrolled: 1-line block ×4, first 2 shown]
	global_load_dwordx2 v[87:88], v[16:17], off offset:352
	ds_read2_b64 v[16:19], v99 offset1:240
	ds_read2_b64 v[20:23], v40 offset1:240
	;; [unrolled: 1-line block ×5, first 2 shown]
	s_waitcnt vmcnt(0) lgkmcnt(0)
	s_barrier
	v_mul_f32_e32 v57, v18, v37
	v_mul_f32_e32 v56, v19, v37
	v_fmac_f32_e32 v57, v19, v36
	v_mul_f32_e32 v19, v20, v39
	v_fma_f32 v56, v18, v36, -v56
	v_mul_f32_e32 v18, v21, v39
	v_fmac_f32_e32 v19, v21, v38
	v_mul_f32_e32 v21, v22, v33
	v_fma_f32 v18, v20, v38, -v18
	;; [unrolled: 4-line block ×8, first 2 shown]
	v_mul_f32_e32 v52, v55, v88
	v_fmac_f32_e32 v53, v55, v87
	v_add_f32_e32 v55, v22, v42
	v_fma_f32 v55, -0.5, v55, v16
	v_sub_f32_e32 v58, v19, v47
	v_mov_b32_e32 v59, v55
	v_fmac_f32_e32 v59, 0x3f737871, v58
	v_sub_f32_e32 v60, v23, v43
	v_sub_f32_e32 v61, v18, v22
	;; [unrolled: 1-line block ×3, first 2 shown]
	v_fmac_f32_e32 v55, 0xbf737871, v58
	v_fmac_f32_e32 v59, 0x3f167918, v60
	v_add_f32_e32 v61, v61, v86
	v_fmac_f32_e32 v55, 0xbf167918, v60
	v_fmac_f32_e32 v59, 0x3e9e377a, v61
	;; [unrolled: 1-line block ×3, first 2 shown]
	v_add_f32_e32 v61, v18, v46
	v_fma_f32 v61, -0.5, v61, v16
	v_mov_b32_e32 v86, v61
	v_fma_f32 v52, v54, v87, -v52
	v_add_f32_e32 v54, v16, v18
	v_fmac_f32_e32 v86, 0xbf737871, v60
	v_sub_f32_e32 v16, v22, v18
	v_sub_f32_e32 v89, v42, v46
	v_fmac_f32_e32 v61, 0x3f737871, v60
	v_fmac_f32_e32 v86, 0x3f167918, v58
	v_add_f32_e32 v16, v16, v89
	v_fmac_f32_e32 v61, 0xbf167918, v58
	v_fmac_f32_e32 v86, 0x3e9e377a, v16
	;; [unrolled: 1-line block ×3, first 2 shown]
	v_add_f32_e32 v16, v17, v19
	v_add_f32_e32 v16, v16, v23
	;; [unrolled: 1-line block ×7, first 2 shown]
	v_fma_f32 v90, -0.5, v16, v17
	v_add_f32_e32 v54, v54, v46
	v_sub_f32_e32 v16, v18, v46
	v_mov_b32_e32 v46, v90
	v_fmac_f32_e32 v46, 0xbf737871, v16
	v_sub_f32_e32 v18, v22, v42
	v_sub_f32_e32 v22, v19, v23
	v_sub_f32_e32 v42, v47, v43
	v_fmac_f32_e32 v90, 0x3f737871, v16
	v_fmac_f32_e32 v46, 0xbf167918, v18
	v_add_f32_e32 v22, v22, v42
	v_fmac_f32_e32 v90, 0x3f167918, v18
	v_fmac_f32_e32 v46, 0x3e9e377a, v22
	;; [unrolled: 1-line block ×3, first 2 shown]
	v_add_f32_e32 v22, v19, v47
	v_fma_f32 v91, -0.5, v22, v17
	v_mov_b32_e32 v92, v91
	v_fmac_f32_e32 v92, 0x3f737871, v18
	v_fmac_f32_e32 v91, 0xbf737871, v18
	;; [unrolled: 1-line block ×4, first 2 shown]
	v_add_f32_e32 v16, v56, v20
	v_add_f32_e32 v16, v16, v40
	;; [unrolled: 1-line block ×5, first 2 shown]
	v_sub_f32_e32 v17, v23, v19
	v_sub_f32_e32 v19, v43, v47
	v_fma_f32 v43, -0.5, v16, v56
	v_add_f32_e32 v17, v17, v19
	v_sub_f32_e32 v16, v21, v53
	v_mov_b32_e32 v19, v43
	v_fmac_f32_e32 v92, 0x3e9e377a, v17
	v_fmac_f32_e32 v91, 0x3e9e377a, v17
	;; [unrolled: 1-line block ×3, first 2 shown]
	v_sub_f32_e32 v17, v41, v45
	v_sub_f32_e32 v18, v20, v40
	;; [unrolled: 1-line block ×3, first 2 shown]
	v_fmac_f32_e32 v43, 0xbf737871, v16
	v_fmac_f32_e32 v19, 0x3f167918, v17
	v_add_f32_e32 v18, v18, v22
	v_fmac_f32_e32 v43, 0xbf167918, v17
	v_fmac_f32_e32 v19, 0x3e9e377a, v18
	;; [unrolled: 1-line block ×3, first 2 shown]
	v_add_f32_e32 v18, v20, v52
	v_fmac_f32_e32 v56, -0.5, v18
	v_mov_b32_e32 v23, v56
	v_fmac_f32_e32 v23, 0xbf737871, v17
	v_fmac_f32_e32 v56, 0x3f737871, v17
	;; [unrolled: 1-line block ×4, first 2 shown]
	v_add_f32_e32 v16, v57, v21
	v_add_f32_e32 v16, v16, v41
	;; [unrolled: 1-line block ×5, first 2 shown]
	v_sub_f32_e32 v18, v40, v20
	v_sub_f32_e32 v22, v44, v52
	v_fma_f32 v58, -0.5, v16, v57
	v_add_f32_e32 v18, v18, v22
	v_sub_f32_e32 v16, v20, v52
	v_mov_b32_e32 v52, v58
	v_fmac_f32_e32 v23, 0x3e9e377a, v18
	v_fmac_f32_e32 v56, 0x3e9e377a, v18
	;; [unrolled: 1-line block ×3, first 2 shown]
	v_sub_f32_e32 v17, v40, v44
	v_sub_f32_e32 v18, v21, v41
	;; [unrolled: 1-line block ×3, first 2 shown]
	v_fmac_f32_e32 v58, 0x3f737871, v16
	v_fmac_f32_e32 v52, 0xbf167918, v17
	v_add_f32_e32 v18, v18, v20
	v_fmac_f32_e32 v58, 0x3f167918, v17
	v_fmac_f32_e32 v52, 0x3e9e377a, v18
	;; [unrolled: 1-line block ×3, first 2 shown]
	v_add_f32_e32 v18, v21, v53
	v_fmac_f32_e32 v57, -0.5, v18
	v_mov_b32_e32 v44, v57
	v_fmac_f32_e32 v44, 0x3f737871, v17
	v_sub_f32_e32 v18, v41, v21
	v_sub_f32_e32 v20, v45, v53
	v_fmac_f32_e32 v44, 0xbf167918, v16
	v_add_f32_e32 v18, v18, v20
	v_fmac_f32_e32 v57, 0xbf737871, v17
	v_fmac_f32_e32 v44, 0x3e9e377a, v18
	;; [unrolled: 1-line block ×4, first 2 shown]
	v_mul_f32_e32 v53, 0x3f737871, v44
	v_mul_f32_e32 v45, 0x3f167918, v52
	v_fmac_f32_e32 v53, 0x3e9e377a, v23
	v_mul_f32_e32 v95, 0xbf737871, v23
	v_mul_f32_e32 v23, 0x3e9e377a, v57
	v_fmac_f32_e32 v45, 0x3f4f1bbd, v19
	;; [unrolled: 3-line block ×3, first 2 shown]
	v_fma_f32 v44, v56, s4, -v23
	v_add_f32_e32 v18, v59, v45
	v_fma_f32 v60, v57, s12, -v17
	v_mul_f32_e32 v17, 0x3f4f1bbd, v43
	v_fmac_f32_e32 v94, 0x3f4f1bbd, v52
	v_add_f32_e32 v23, v91, v44
	v_mul_f32_e32 v41, 0x3f4f1bbd, v58
	v_sub_f32_e32 v52, v59, v45
	v_sub_f32_e32 v59, v91, v44
	v_mul_u32_u24_e32 v44, 0x190, v62
	v_add_f32_e32 v16, v54, v42
	v_fma_f32 v93, v58, s16, -v17
	v_add_f32_e32 v17, v89, v47
	v_add_f32_e32 v19, v46, v94
	v_fma_f32 v96, v43, s5, -v41
	v_add_lshl_u32 v105, v44, v63, 3
	v_add_f32_e32 v20, v86, v53
	v_add_f32_e32 v22, v61, v60
	v_add_f32_e32 v40, v55, v93
	v_add_f32_e32 v21, v92, v95
	v_add_f32_e32 v41, v90, v96
	v_sub_f32_e32 v42, v54, v42
	v_sub_f32_e32 v56, v86, v53
	;; [unrolled: 1-line block ×5, first 2 shown]
	ds_write2_b64 v105, v[16:17], v[18:19] offset1:40
	ds_write2_b64 v105, v[20:21], v[22:23] offset0:80 offset1:120
	ds_write2_b64 v105, v[40:41], v[42:43] offset0:160 offset1:200
	v_add_u32_e32 v16, 0x400, v105
	v_sub_f32_e32 v58, v61, v60
	v_sub_f32_e32 v60, v55, v93
	;; [unrolled: 1-line block ×3, first 2 shown]
	ds_write2_b64 v16, v[52:53], v[56:57] offset0:112 offset1:152
	v_add_u32_e32 v16, 0x800, v105
	ds_write2_b64 v16, v[58:59], v[60:61] offset0:64 offset1:104
	s_waitcnt lgkmcnt(0)
	s_barrier
	ds_read_b64 v[54:55], v99
	ds_read_b64 v[97:98], v99 offset:3200
	ds_read_b64 v[95:96], v99 offset:6400
	;; [unrolled: 1-line block ×5, first 2 shown]
	s_movk_i32 s4, 0xa0
	v_cmp_gt_u16_e64 s[4:5], s4, v100
	s_and_saveexec_b64 s[16:17], s[4:5]
	s_cbranch_execz .LBB0_9
; %bb.8:
	ds_read_b64 v[52:53], v99 offset:1920
	ds_read_b64 v[56:57], v99 offset:5120
	;; [unrolled: 1-line block ×6, first 2 shown]
.LBB0_9:
	s_or_b64 exec, exec, s[16:17]
	v_mad_u64_u32 v[16:17], s[16:17], v100, 40, s[14:15]
	v_add_u32_e32 v18, 0xffffff60, v100
	v_cndmask_b32_e64 v18, v18, v85, s[4:5]
	v_mul_hi_i32_i24_e32 v20, 40, v18
	v_mul_i32_i24_e32 v18, 40, v18
	global_load_dwordx4 v[40:43], v[16:17], off offset:3184
	global_load_dwordx4 v[44:47], v[16:17], off offset:3168
	v_mov_b32_e32 v19, s15
	global_load_dwordx2 v[89:90], v[16:17], off offset:3200
	v_add_co_u32_e32 v106, vcc, s14, v18
	v_addc_co_u32_e32 v107, vcc, v19, v20, vcc
	global_load_dwordx4 v[16:19], v[106:107], off offset:3168
	global_load_dwordx4 v[20:23], v[106:107], off offset:3184
	global_load_dwordx2 v[85:86], v[106:107], off offset:3200
	s_waitcnt vmcnt(5) lgkmcnt(2)
	v_mul_f32_e32 v110, v94, v41
	v_mul_f32_e32 v111, v93, v41
	s_waitcnt vmcnt(4)
	v_mul_f32_e32 v106, v98, v45
	s_waitcnt vmcnt(3) lgkmcnt(0)
	v_mul_f32_e32 v114, v63, v90
	v_mul_f32_e32 v115, v62, v90
	v_mul_f32_e32 v107, v97, v45
	v_mul_f32_e32 v108, v96, v47
	v_mul_f32_e32 v112, v92, v43
	s_waitcnt vmcnt(1)
	v_mul_f32_e32 v121, v60, v21
	v_fma_f32 v93, v93, v40, -v110
	v_fmac_f32_e32 v111, v94, v40
	v_fma_f32 v62, v62, v89, -v114
	v_fmac_f32_e32 v115, v63, v89
	v_mul_f32_e32 v109, v95, v47
	v_mul_f32_e32 v113, v91, v43
	;; [unrolled: 1-line block ×7, first 2 shown]
	v_fma_f32 v97, v97, v44, -v106
	v_fmac_f32_e32 v107, v98, v44
	v_fma_f32 v95, v95, v46, -v108
	v_fma_f32 v91, v91, v42, -v112
	v_fmac_f32_e32 v121, v61, v20
	v_add_f32_e32 v61, v93, v62
	v_add_f32_e32 v98, v111, v115
	v_mul_f32_e32 v116, v57, v17
	v_mul_f32_e32 v118, v59, v19
	v_fmac_f32_e32 v117, v57, v16
	v_fmac_f32_e32 v119, v59, v18
	v_fma_f32 v57, v60, v20, -v120
	v_fma_f32 v94, v48, v22, -v122
	v_fmac_f32_e32 v123, v49, v22
	v_add_f32_e32 v48, v54, v95
	v_add_f32_e32 v49, v95, v91
	v_sub_f32_e32 v59, v95, v91
	v_add_f32_e32 v60, v97, v93
	v_sub_f32_e32 v63, v111, v115
	v_add_f32_e32 v95, v107, v111
	v_fmac_f32_e32 v97, -0.5, v61
	v_fmac_f32_e32 v107, -0.5, v98
	s_waitcnt vmcnt(0)
	v_mul_f32_e32 v124, v51, v86
	v_fmac_f32_e32 v109, v96, v46
	v_fmac_f32_e32 v113, v92, v42
	v_sub_f32_e32 v93, v93, v62
	v_mov_b32_e32 v61, v97
	v_fmac_f32_e32 v97, 0xbf5db3d7, v63
	v_mov_b32_e32 v106, v107
	v_mul_f32_e32 v125, v50, v86
	v_fma_f32 v96, v50, v85, -v124
	v_sub_f32_e32 v50, v109, v113
	v_fma_f32 v49, -0.5, v49, v54
	v_fmac_f32_e32 v107, 0x3f5db3d7, v93
	v_fmac_f32_e32 v106, 0xbf5db3d7, v93
	v_mul_f32_e32 v93, -0.5, v97
	v_fma_f32 v92, v56, v16, -v116
	v_fma_f32 v56, v58, v18, -v118
	v_add_f32_e32 v58, v109, v113
	v_add_f32_e32 v48, v48, v91
	;; [unrolled: 1-line block ×3, first 2 shown]
	v_mov_b32_e32 v95, v49
	v_fmac_f32_e32 v49, 0xbf5db3d7, v50
	v_fmac_f32_e32 v61, 0x3f5db3d7, v63
	v_fmac_f32_e32 v93, 0x3f5db3d7, v107
	v_fmac_f32_e32 v125, v51, v85
	v_add_f32_e32 v51, v55, v109
	v_fmac_f32_e32 v55, -0.5, v58
	v_add_f32_e32 v54, v60, v62
	v_fmac_f32_e32 v95, 0x3f5db3d7, v50
	v_mul_f32_e32 v50, 0x3f5db3d7, v106
	v_add_f32_e32 v62, v49, v93
	v_mul_f32_e32 v109, 0xbf5db3d7, v61
	v_sub_f32_e32 v110, v49, v93
	v_add_f32_e32 v49, v56, v94
	v_add_f32_e32 v51, v51, v113
	v_mov_b32_e32 v98, v55
	v_add_f32_e32 v58, v48, v54
	v_fmac_f32_e32 v50, 0.5, v61
	v_fmac_f32_e32 v109, 0.5, v106
	v_sub_f32_e32 v106, v48, v54
	v_add_f32_e32 v48, v52, v56
	v_fmac_f32_e32 v52, -0.5, v49
	v_fmac_f32_e32 v55, 0x3f5db3d7, v59
	v_fmac_f32_e32 v98, 0xbf5db3d7, v59
	v_add_f32_e32 v60, v95, v50
	v_add_f32_e32 v59, v51, v91
	v_mul_f32_e32 v111, -0.5, v107
	v_sub_f32_e32 v108, v95, v50
	v_sub_f32_e32 v107, v51, v91
	;; [unrolled: 1-line block ×3, first 2 shown]
	v_mov_b32_e32 v49, v52
	v_add_f32_e32 v51, v119, v123
	v_fmac_f32_e32 v111, 0xbf5db3d7, v97
	v_fmac_f32_e32 v49, 0x3f5db3d7, v50
	v_fmac_f32_e32 v52, 0xbf5db3d7, v50
	v_add_f32_e32 v50, v53, v119
	v_fmac_f32_e32 v53, -0.5, v51
	v_add_f32_e32 v63, v55, v111
	v_sub_f32_e32 v111, v55, v111
	v_sub_f32_e32 v54, v56, v94
	v_mov_b32_e32 v51, v53
	v_add_f32_e32 v55, v57, v96
	v_fmac_f32_e32 v51, 0xbf5db3d7, v54
	v_fmac_f32_e32 v53, 0x3f5db3d7, v54
	v_add_f32_e32 v54, v92, v57
	v_fmac_f32_e32 v92, -0.5, v55
	v_sub_f32_e32 v55, v121, v125
	v_mov_b32_e32 v93, v92
	v_add_f32_e32 v56, v121, v125
	v_fmac_f32_e32 v93, 0x3f5db3d7, v55
	v_fmac_f32_e32 v92, 0xbf5db3d7, v55
	v_add_f32_e32 v55, v117, v121
	v_fmac_f32_e32 v117, -0.5, v56
	v_add_f32_e32 v48, v48, v94
	v_sub_f32_e32 v56, v57, v96
	v_mov_b32_e32 v94, v117
	v_fmac_f32_e32 v94, 0xbf5db3d7, v56
	v_fmac_f32_e32 v117, 0x3f5db3d7, v56
	v_add_f32_e32 v54, v54, v96
	v_mul_f32_e32 v56, 0x3f5db3d7, v94
	v_mul_f32_e32 v95, -0.5, v92
	v_mul_f32_e32 v57, 0xbf5db3d7, v93
	v_mul_f32_e32 v96, -0.5, v117
	v_add_f32_e32 v50, v50, v123
	v_add_f32_e32 v55, v55, v125
	v_fmac_f32_e32 v56, 0.5, v93
	v_fmac_f32_e32 v95, 0x3f5db3d7, v117
	v_fmac_f32_e32 v57, 0.5, v94
	v_fmac_f32_e32 v96, 0xbf5db3d7, v92
	v_add_f32_e32 v61, v98, v109
	v_sub_f32_e32 v109, v98, v109
	v_add_f32_e32 v91, v52, v95
	v_add_f32_e32 v92, v53, v96
	v_sub_f32_e32 v93, v48, v54
	v_sub_f32_e32 v97, v49, v56
	;; [unrolled: 1-line block ×6, first 2 shown]
	ds_write_b64 v99, v[58:59]
	ds_write_b64 v99, v[60:61] offset:3200
	ds_write_b64 v99, v[62:63] offset:6400
	;; [unrolled: 1-line block ×5, first 2 shown]
	s_and_saveexec_b64 s[14:15], s[4:5]
	s_cbranch_execz .LBB0_11
; %bb.10:
	v_add_f32_e32 v53, v50, v55
	v_add_f32_e32 v52, v48, v54
	;; [unrolled: 1-line block ×4, first 2 shown]
	ds_write_b64 v99, v[52:53] offset:1920
	ds_write_b64 v99, v[50:51] offset:5120
	;; [unrolled: 1-line block ×6, first 2 shown]
.LBB0_11:
	s_or_b64 exec, exec, s[14:15]
	v_mov_b32_e32 v48, s13
	v_addc_co_u32_e64 v55, vcc, 0, v48, s[2:3]
	v_add_co_u32_e32 v48, vcc, 0x4b00, v64
	v_addc_co_u32_e32 v49, vcc, 0, v55, vcc
	v_add_co_u32_e32 v50, vcc, 0x4000, v64
	v_addc_co_u32_e32 v51, vcc, 0, v55, vcc
	s_waitcnt lgkmcnt(0)
	s_barrier
	global_load_dwordx2 v[58:59], v[50:51], off offset:2816
	v_add_co_u32_e32 v50, vcc, 0x5000, v64
	v_addc_co_u32_e32 v51, vcc, 0, v55, vcc
	v_add_co_u32_e32 v52, vcc, 0x7000, v64
	v_addc_co_u32_e32 v53, vcc, 0, v55, vcc
	global_load_dwordx2 v[62:63], v[50:51], off offset:3520
	global_load_dwordx2 v[114:115], v[52:53], off offset:128
	;; [unrolled: 1-line block ×3, first 2 shown]
	v_add_co_u32_e32 v50, vcc, 0x8000, v64
	v_addc_co_u32_e32 v51, vcc, 0, v55, vcc
	s_movk_i32 s2, 0x6000
	v_add_co_u32_e32 v54, vcc, s2, v64
	v_addc_co_u32_e32 v55, vcc, 0, v55, vcc
	global_load_dwordx2 v[118:119], v[50:51], off offset:832
	global_load_dwordx2 v[120:121], v[54:55], off offset:1344
	;; [unrolled: 1-line block ×4, first 2 shown]
	ds_read2_b64 v[51:54], v99 offset1:240
	v_add_u32_e32 v50, 0x1280, v99
	v_add_u32_e32 v57, 0x2580, v99
	v_add_u32_e32 v56, 0x3800, v99
	s_waitcnt vmcnt(7) lgkmcnt(0)
	v_mul_f32_e32 v55, v52, v59
	v_mul_f32_e32 v60, v51, v59
	v_fma_f32 v59, v51, v58, -v55
	v_fmac_f32_e32 v60, v52, v58
	ds_write_b64 v99, v[59:60]
	ds_read2_b64 v[58:61], v50 offset0:8 offset1:248
	ds_read2_b64 v[106:109], v57 offset1:240
	ds_read2_b64 v[110:113], v56 offset0:8 offset1:248
	s_waitcnt vmcnt(4)
	v_mul_f32_e32 v51, v54, v117
	v_mul_f32_e32 v52, v53, v117
	v_fma_f32 v51, v53, v116, -v51
	v_fmac_f32_e32 v52, v54, v116
	ds_write_b64 v99, v[51:52] offset:1920
	s_waitcnt lgkmcnt(3)
	v_mul_f32_e32 v51, v59, v63
	v_mul_f32_e32 v52, v58, v63
	s_waitcnt lgkmcnt(2)
	v_mul_f32_e32 v53, v107, v115
	v_mul_f32_e32 v54, v106, v115
	s_waitcnt vmcnt(2)
	v_mul_f32_e32 v116, v61, v121
	v_mul_f32_e32 v115, v60, v121
	s_waitcnt lgkmcnt(1)
	v_mul_f32_e32 v55, v111, v119
	v_mul_f32_e32 v63, v110, v119
	s_waitcnt vmcnt(0)
	v_mul_f32_e32 v121, v109, v125
	v_mul_f32_e32 v117, v108, v125
	;; [unrolled: 1-line block ×4, first 2 shown]
	v_fma_f32 v51, v58, v62, -v51
	v_fmac_f32_e32 v52, v59, v62
	v_fma_f32 v53, v106, v114, -v53
	v_fmac_f32_e32 v54, v107, v114
	v_fma_f32 v114, v60, v120, -v116
	v_fmac_f32_e32 v115, v61, v120
	v_fma_f32 v62, v110, v118, -v55
	v_fmac_f32_e32 v63, v111, v118
	v_fma_f32 v116, v108, v124, -v121
	v_fmac_f32_e32 v117, v109, v124
	v_fma_f32 v118, v112, v122, -v125
	v_fmac_f32_e32 v119, v113, v122
	ds_write2_b64 v50, v[51:52], v[114:115] offset0:8 offset1:248
	ds_write2_b64 v57, v[53:54], v[116:117] offset1:240
	ds_write2_b64 v56, v[62:63], v[118:119] offset0:8 offset1:248
	s_and_saveexec_b64 s[2:3], s[0:1]
	s_cbranch_execz .LBB0_13
; %bb.12:
	v_add_co_u32_e32 v53, vcc, 0x2000, v48
	v_addc_co_u32_e32 v54, vcc, 0, v49, vcc
	v_add_co_u32_e32 v58, vcc, 0x3000, v48
	global_load_dwordx2 v[51:52], v[48:49], off offset:3840
	v_addc_co_u32_e32 v59, vcc, 0, v49, vcc
	global_load_dwordx2 v[58:59], v[58:59], off offset:1152
	v_add_co_u32_e32 v48, vcc, 0x4000, v48
	global_load_dwordx2 v[53:54], v[53:54], off offset:448
	v_addc_co_u32_e32 v49, vcc, 0, v49, vcc
	global_load_dwordx2 v[48:49], v[48:49], off offset:1856
	ds_read_b64 v[60:61], v99 offset:3840
	ds_read_b64 v[62:63], v99 offset:8640
	ds_read_b64 v[106:107], v99 offset:13440
	ds_read_b64 v[108:109], v99 offset:18240
	s_waitcnt vmcnt(3) lgkmcnt(3)
	v_mul_f32_e32 v55, v61, v52
	v_mul_f32_e32 v111, v60, v52
	v_fma_f32 v110, v60, v51, -v55
	v_fmac_f32_e32 v111, v61, v51
	ds_write_b64 v99, v[110:111] offset:3840
	s_waitcnt vmcnt(1) lgkmcnt(3)
	v_mul_f32_e32 v51, v63, v54
	v_mul_f32_e32 v52, v62, v54
	v_fma_f32 v51, v62, v53, -v51
	v_fmac_f32_e32 v52, v63, v53
	s_waitcnt lgkmcnt(2)
	v_mul_f32_e32 v54, v107, v59
	v_mul_f32_e32 v53, v106, v59
	ds_write_b64 v99, v[51:52] offset:8640
	v_fma_f32 v52, v106, v58, -v54
	v_fmac_f32_e32 v53, v107, v58
	s_waitcnt vmcnt(0) lgkmcnt(2)
	v_mul_f32_e32 v51, v109, v49
	v_mul_f32_e32 v54, v108, v49
	ds_write_b64 v99, v[52:53] offset:13440
	v_fma_f32 v53, v108, v48, -v51
	v_fmac_f32_e32 v54, v109, v48
	ds_write_b64 v99, v[53:54] offset:18240
.LBB0_13:
	s_or_b64 exec, exec, s[2:3]
	s_waitcnt lgkmcnt(0)
	s_barrier
	ds_read2_b64 v[52:55], v99 offset1:240
	ds_read2_b64 v[48:51], v50 offset0:8 offset1:248
	ds_read2_b64 v[60:63], v57 offset1:240
	ds_read2_b64 v[56:59], v56 offset0:8 offset1:248
	s_and_saveexec_b64 s[2:3], s[0:1]
	s_cbranch_execz .LBB0_15
; %bb.14:
	ds_read_b64 v[91:92], v99 offset:3840
	ds_read_b64 v[93:94], v99 offset:8640
	;; [unrolled: 1-line block ×4, first 2 shown]
.LBB0_15:
	s_or_b64 exec, exec, s[2:3]
	s_waitcnt lgkmcnt(1)
	v_sub_f32_e32 v60, v52, v60
	s_waitcnt lgkmcnt(0)
	v_sub_f32_e32 v56, v48, v56
	v_sub_f32_e32 v61, v53, v61
	v_fma_f32 v52, v52, 2.0, -v60
	v_sub_f32_e32 v57, v49, v57
	v_fma_f32 v48, v48, 2.0, -v56
	v_fma_f32 v53, v53, 2.0, -v61
	;; [unrolled: 1-line block ×3, first 2 shown]
	v_sub_f32_e32 v106, v52, v48
	v_sub_f32_e32 v48, v54, v62
	;; [unrolled: 1-line block ×3, first 2 shown]
	v_fma_f32 v110, v52, 2.0, -v106
	v_sub_f32_e32 v49, v55, v63
	v_fma_f32 v52, v54, 2.0, -v48
	v_sub_f32_e32 v54, v50, v58
	v_fma_f32 v111, v53, 2.0, -v107
	v_fma_f32 v53, v55, 2.0, -v49
	v_sub_f32_e32 v55, v51, v59
	v_fma_f32 v50, v50, 2.0, -v54
	v_add_f32_e32 v108, v60, v57
	v_sub_f32_e32 v109, v61, v56
	v_fma_f32 v51, v51, 2.0, -v55
	v_sub_f32_e32 v56, v52, v50
	v_fma_f32 v112, v60, 2.0, -v108
	;; [unrolled: 2-line block ×3, first 2 shown]
	v_add_f32_e32 v58, v48, v55
	v_sub_f32_e32 v59, v49, v54
	v_sub_f32_e32 v52, v91, v97
	;; [unrolled: 1-line block ×5, first 2 shown]
	v_fma_f32 v113, v61, 2.0, -v109
	v_fma_f32 v61, v53, 2.0, -v57
	;; [unrolled: 1-line block ×8, first 2 shown]
	v_sub_f32_e32 v48, v53, v48
	v_sub_f32_e32 v49, v55, v49
	v_add_f32_e32 v50, v50, v52
	v_sub_f32_e32 v51, v54, v51
	s_barrier
	ds_write_b128 v102, v[110:113]
	ds_write_b128 v102, v[106:109] offset:16
	ds_write_b128 v103, v[60:63]
	ds_write_b128 v103, v[56:59] offset:16
	s_and_saveexec_b64 s[2:3], s[0:1]
	s_cbranch_execz .LBB0_17
; %bb.16:
	v_fma_f32 v57, v54, 2.0, -v51
	v_fma_f32 v56, v52, 2.0, -v50
	;; [unrolled: 1-line block ×4, first 2 shown]
	ds_write_b128 v101, v[54:57]
	ds_write_b128 v101, v[48:51] offset:16
.LBB0_17:
	s_or_b64 exec, exec, s[2:3]
	s_waitcnt lgkmcnt(0)
	s_barrier
	ds_read2_b64 v[52:55], v99 offset1:240
	v_add_u32_e32 v101, 0xf00, v99
	ds_read2_b64 v[56:59], v101 offset1:240
	v_add_u32_e32 v102, 0x1e00, v99
	ds_read2_b64 v[60:63], v102 offset1:240
	v_add_u32_e32 v103, 0x2d00, v99
	ds_read2_b64 v[91:94], v103 offset1:240
	s_waitcnt lgkmcnt(3)
	v_mul_f32_e32 v107, v13, v55
	v_mul_f32_e32 v13, v13, v54
	v_add_u32_e32 v106, 0x3c00, v99
	v_fmac_f32_e32 v107, v12, v54
	v_fma_f32 v12, v12, v55, -v13
	s_waitcnt lgkmcnt(2)
	v_mul_f32_e32 v13, v15, v57
	v_mul_f32_e32 v15, v15, v56
	ds_read2_b64 v[95:98], v106 offset1:240
	v_fmac_f32_e32 v13, v14, v56
	v_fma_f32 v14, v14, v57, -v15
	v_mul_f32_e32 v15, v9, v59
	v_mul_f32_e32 v9, v9, v58
	v_fmac_f32_e32 v15, v8, v58
	v_fma_f32 v8, v8, v59, -v9
	s_waitcnt lgkmcnt(2)
	v_mul_f32_e32 v9, v11, v61
	v_mul_f32_e32 v11, v11, v60
	v_fmac_f32_e32 v9, v10, v60
	v_fma_f32 v10, v10, v61, -v11
	v_mul_f32_e32 v11, v5, v63
	v_mul_f32_e32 v5, v5, v62
	v_fmac_f32_e32 v11, v4, v62
	v_fma_f32 v4, v4, v63, -v5
	s_waitcnt lgkmcnt(1)
	v_mul_f32_e32 v5, v7, v92
	v_mul_f32_e32 v7, v7, v91
	;; [unrolled: 9-line block ×3, first 2 shown]
	v_add_f32_e32 v56, v9, v5
	v_fmac_f32_e32 v1, v2, v95
	v_fma_f32 v2, v2, v96, -v3
	v_fma_f32 v56, -0.5, v56, v52
	v_sub_f32_e32 v57, v14, v2
	v_mov_b32_e32 v58, v56
	v_fmac_f32_e32 v58, 0xbf737871, v57
	v_sub_f32_e32 v59, v10, v6
	v_sub_f32_e32 v60, v13, v9
	;; [unrolled: 1-line block ×3, first 2 shown]
	v_fmac_f32_e32 v56, 0x3f737871, v57
	v_fmac_f32_e32 v58, 0xbf167918, v59
	v_add_f32_e32 v60, v60, v61
	v_fmac_f32_e32 v56, 0x3f167918, v59
	v_fmac_f32_e32 v58, 0x3e9e377a, v60
	;; [unrolled: 1-line block ×3, first 2 shown]
	v_add_f32_e32 v60, v13, v1
	v_add_f32_e32 v55, v52, v13
	v_fma_f32 v52, -0.5, v60, v52
	v_mov_b32_e32 v60, v52
	v_add_f32_e32 v55, v55, v9
	v_fmac_f32_e32 v60, 0x3f737871, v59
	v_fmac_f32_e32 v52, 0xbf737871, v59
	v_add_f32_e32 v59, v10, v6
	v_add_f32_e32 v55, v55, v5
	v_sub_f32_e32 v61, v9, v13
	v_sub_f32_e32 v62, v5, v1
	v_fma_f32 v59, -0.5, v59, v53
	v_add_f32_e32 v55, v55, v1
	v_fmac_f32_e32 v60, 0xbf167918, v57
	v_add_f32_e32 v61, v61, v62
	v_fmac_f32_e32 v52, 0x3f167918, v57
	v_sub_f32_e32 v1, v13, v1
	v_mov_b32_e32 v13, v59
	v_fmac_f32_e32 v60, 0x3e9e377a, v61
	v_fmac_f32_e32 v52, 0x3e9e377a, v61
	;; [unrolled: 1-line block ×3, first 2 shown]
	v_sub_f32_e32 v5, v9, v5
	v_sub_f32_e32 v9, v14, v10
	;; [unrolled: 1-line block ×3, first 2 shown]
	v_fmac_f32_e32 v59, 0xbf737871, v1
	v_fmac_f32_e32 v13, 0x3f167918, v5
	v_add_f32_e32 v9, v9, v61
	v_fmac_f32_e32 v59, 0xbf167918, v5
	v_fmac_f32_e32 v13, 0x3e9e377a, v9
	;; [unrolled: 1-line block ×3, first 2 shown]
	v_add_f32_e32 v9, v14, v2
	v_add_f32_e32 v57, v53, v14
	v_fma_f32 v53, -0.5, v9, v53
	v_mov_b32_e32 v61, v53
	v_fmac_f32_e32 v61, 0xbf737871, v5
	v_fmac_f32_e32 v53, 0x3f737871, v5
	;; [unrolled: 1-line block ×4, first 2 shown]
	v_add_f32_e32 v1, v107, v15
	v_mul_f32_e32 v3, v84, v98
	v_add_f32_e32 v57, v57, v10
	v_add_f32_e32 v1, v1, v11
	v_fmac_f32_e32 v3, v83, v97
	v_add_f32_e32 v57, v57, v6
	v_add_f32_e32 v1, v1, v7
	v_mul_f32_e32 v54, v84, v97
	v_add_f32_e32 v57, v57, v2
	v_sub_f32_e32 v9, v10, v14
	v_sub_f32_e32 v2, v6, v2
	v_add_f32_e32 v10, v1, v3
	v_add_f32_e32 v1, v11, v7
	v_fma_f32 v54, v83, v98, -v54
	v_add_f32_e32 v2, v9, v2
	v_fma_f32 v9, -0.5, v1, v107
	v_sub_f32_e32 v1, v8, v54
	v_mov_b32_e32 v5, v9
	v_fmac_f32_e32 v61, 0x3e9e377a, v2
	v_fmac_f32_e32 v53, 0x3e9e377a, v2
	;; [unrolled: 1-line block ×3, first 2 shown]
	v_sub_f32_e32 v2, v4, v0
	v_sub_f32_e32 v6, v15, v11
	;; [unrolled: 1-line block ×3, first 2 shown]
	v_fmac_f32_e32 v9, 0x3f737871, v1
	v_fmac_f32_e32 v5, 0xbf167918, v2
	v_add_f32_e32 v6, v6, v14
	v_fmac_f32_e32 v9, 0x3f167918, v2
	v_fmac_f32_e32 v5, 0x3e9e377a, v6
	v_fmac_f32_e32 v9, 0x3e9e377a, v6
	v_add_f32_e32 v6, v15, v3
	v_fmac_f32_e32 v107, -0.5, v6
	v_mov_b32_e32 v14, v107
	v_fmac_f32_e32 v14, 0x3f737871, v2
	v_fmac_f32_e32 v107, 0xbf737871, v2
	;; [unrolled: 1-line block ×4, first 2 shown]
	v_add_f32_e32 v1, v12, v8
	v_add_f32_e32 v1, v1, v4
	v_sub_f32_e32 v6, v11, v15
	v_sub_f32_e32 v62, v7, v3
	v_add_f32_e32 v1, v1, v0
	v_add_f32_e32 v6, v6, v62
	;; [unrolled: 1-line block ×4, first 2 shown]
	v_fma_f32 v63, -0.5, v1, v12
	v_sub_f32_e32 v1, v15, v3
	v_mov_b32_e32 v3, v63
	v_fmac_f32_e32 v14, 0x3e9e377a, v6
	v_fmac_f32_e32 v107, 0x3e9e377a, v6
	;; [unrolled: 1-line block ×3, first 2 shown]
	v_sub_f32_e32 v2, v11, v7
	v_sub_f32_e32 v6, v8, v4
	;; [unrolled: 1-line block ×3, first 2 shown]
	v_fmac_f32_e32 v63, 0xbf737871, v1
	v_fmac_f32_e32 v3, 0x3f167918, v2
	v_add_f32_e32 v6, v6, v7
	v_fmac_f32_e32 v63, 0xbf167918, v2
	v_fmac_f32_e32 v3, 0x3e9e377a, v6
	;; [unrolled: 1-line block ×3, first 2 shown]
	v_add_f32_e32 v6, v8, v54
	v_fmac_f32_e32 v12, -0.5, v6
	v_mov_b32_e32 v7, v12
	v_fmac_f32_e32 v7, 0xbf737871, v2
	v_sub_f32_e32 v4, v4, v8
	v_sub_f32_e32 v0, v0, v54
	v_fmac_f32_e32 v12, 0x3f737871, v2
	v_fmac_f32_e32 v7, 0x3f167918, v1
	v_add_f32_e32 v0, v4, v0
	v_fmac_f32_e32 v12, 0xbf167918, v1
	v_fmac_f32_e32 v7, 0x3e9e377a, v0
	;; [unrolled: 1-line block ×3, first 2 shown]
	v_mul_f32_e32 v11, 0xbf167918, v3
	v_mul_f32_e32 v15, 0xbf737871, v7
	;; [unrolled: 1-line block ×8, first 2 shown]
	v_fmac_f32_e32 v11, 0x3f4f1bbd, v5
	v_fmac_f32_e32 v15, 0x3e9e377a, v14
	;; [unrolled: 1-line block ×8, first 2 shown]
	v_add_f32_e32 v0, v55, v10
	v_add_f32_e32 v2, v58, v11
	;; [unrolled: 1-line block ×10, first 2 shown]
	v_sub_f32_e32 v10, v55, v10
	v_sub_f32_e32 v12, v58, v11
	;; [unrolled: 1-line block ×10, first 2 shown]
	s_barrier
	ds_write2_b64 v104, v[0:1], v[2:3] offset1:4
	ds_write2_b64 v104, v[4:5], v[6:7] offset0:8 offset1:12
	ds_write2_b64 v104, v[8:9], v[10:11] offset0:16 offset1:20
	;; [unrolled: 1-line block ×4, first 2 shown]
	s_waitcnt lgkmcnt(0)
	s_barrier
	ds_read2_b64 v[0:3], v99 offset1:240
	ds_read2_b64 v[4:7], v101 offset1:240
	;; [unrolled: 1-line block ×5, first 2 shown]
	s_waitcnt lgkmcnt(4)
	v_mul_f32_e32 v56, v37, v3
	v_fmac_f32_e32 v56, v36, v2
	v_mul_f32_e32 v2, v37, v2
	v_fma_f32 v2, v36, v3, -v2
	s_waitcnt lgkmcnt(3)
	v_mul_f32_e32 v3, v39, v5
	v_fmac_f32_e32 v3, v38, v4
	v_mul_f32_e32 v4, v39, v4
	v_fma_f32 v4, v38, v5, -v4
	v_mul_f32_e32 v5, v33, v7
	v_fmac_f32_e32 v5, v32, v6
	v_mul_f32_e32 v6, v33, v6
	v_fma_f32 v6, v32, v7, -v6
	s_waitcnt lgkmcnt(2)
	v_mul_f32_e32 v7, v35, v9
	v_fmac_f32_e32 v7, v34, v8
	v_mul_f32_e32 v8, v35, v8
	v_fma_f32 v8, v34, v9, -v8
	;; [unrolled: 9-line block ×3, first 2 shown]
	v_mul_f32_e32 v13, v25, v15
	v_fmac_f32_e32 v13, v24, v14
	v_mul_f32_e32 v14, v25, v14
	v_fma_f32 v14, v24, v15, -v14
	s_waitcnt lgkmcnt(0)
	v_mul_f32_e32 v24, v27, v52
	v_add_f32_e32 v28, v7, v11
	v_mul_f32_e32 v15, v27, v53
	v_fma_f32 v24, v26, v53, -v24
	v_fma_f32 v28, -0.5, v28, v0
	v_fmac_f32_e32 v15, v26, v52
	v_sub_f32_e32 v29, v4, v24
	v_mov_b32_e32 v30, v28
	v_fmac_f32_e32 v30, 0xbf737871, v29
	v_sub_f32_e32 v31, v8, v12
	v_sub_f32_e32 v32, v3, v7
	v_sub_f32_e32 v33, v15, v11
	v_fmac_f32_e32 v28, 0x3f737871, v29
	v_fmac_f32_e32 v30, 0xbf167918, v31
	v_add_f32_e32 v32, v32, v33
	v_fmac_f32_e32 v28, 0x3f167918, v31
	v_fmac_f32_e32 v30, 0x3e9e377a, v32
	v_fmac_f32_e32 v28, 0x3e9e377a, v32
	v_add_f32_e32 v32, v3, v15
	v_fma_f32 v32, -0.5, v32, v0
	v_mov_b32_e32 v33, v32
	v_add_f32_e32 v27, v0, v3
	v_fmac_f32_e32 v33, 0x3f737871, v31
	v_sub_f32_e32 v0, v7, v3
	v_sub_f32_e32 v34, v11, v15
	v_fmac_f32_e32 v32, 0xbf737871, v31
	v_fmac_f32_e32 v33, 0xbf167918, v29
	v_add_f32_e32 v0, v0, v34
	v_fmac_f32_e32 v32, 0x3f167918, v29
	v_fmac_f32_e32 v33, 0x3e9e377a, v0
	;; [unrolled: 1-line block ×3, first 2 shown]
	v_add_f32_e32 v0, v1, v4
	v_add_f32_e32 v0, v0, v8
	;; [unrolled: 1-line block ×6, first 2 shown]
	v_fma_f32 v31, -0.5, v0, v1
	v_add_f32_e32 v27, v27, v11
	v_sub_f32_e32 v0, v3, v15
	v_mov_b32_e32 v3, v31
	v_add_f32_e32 v27, v27, v15
	v_fmac_f32_e32 v3, 0x3f737871, v0
	v_sub_f32_e32 v7, v7, v11
	v_sub_f32_e32 v11, v4, v8
	;; [unrolled: 1-line block ×3, first 2 shown]
	v_fmac_f32_e32 v31, 0xbf737871, v0
	v_fmac_f32_e32 v3, 0x3f167918, v7
	v_add_f32_e32 v11, v11, v15
	v_fmac_f32_e32 v31, 0xbf167918, v7
	v_fmac_f32_e32 v3, 0x3e9e377a, v11
	;; [unrolled: 1-line block ×3, first 2 shown]
	v_add_f32_e32 v11, v4, v24
	v_fma_f32 v34, -0.5, v11, v1
	v_mov_b32_e32 v35, v34
	v_fmac_f32_e32 v35, 0xbf737871, v7
	v_sub_f32_e32 v1, v8, v4
	v_sub_f32_e32 v4, v12, v24
	v_fmac_f32_e32 v34, 0x3f737871, v7
	v_fmac_f32_e32 v35, 0x3f167918, v0
	v_add_f32_e32 v1, v1, v4
	v_fmac_f32_e32 v34, 0xbf167918, v0
	v_mul_f32_e32 v26, v88, v54
	v_fmac_f32_e32 v35, 0x3e9e377a, v1
	v_fmac_f32_e32 v34, 0x3e9e377a, v1
	v_add_f32_e32 v1, v9, v13
	v_mul_f32_e32 v25, v88, v55
	v_fma_f32 v26, v87, v55, -v26
	v_fma_f32 v1, -0.5, v1, v56
	v_fmac_f32_e32 v25, v87, v54
	v_sub_f32_e32 v4, v6, v26
	v_mov_b32_e32 v7, v1
	v_fmac_f32_e32 v7, 0xbf737871, v4
	v_sub_f32_e32 v8, v10, v14
	v_sub_f32_e32 v11, v5, v9
	;; [unrolled: 1-line block ×3, first 2 shown]
	v_fmac_f32_e32 v1, 0x3f737871, v4
	v_fmac_f32_e32 v7, 0xbf167918, v8
	v_add_f32_e32 v11, v11, v12
	v_fmac_f32_e32 v1, 0x3f167918, v8
	v_fmac_f32_e32 v7, 0x3e9e377a, v11
	v_fmac_f32_e32 v1, 0x3e9e377a, v11
	v_add_f32_e32 v11, v5, v25
	v_add_f32_e32 v0, v56, v5
	v_fmac_f32_e32 v56, -0.5, v11
	v_mov_b32_e32 v15, v56
	v_fmac_f32_e32 v15, 0x3f737871, v8
	v_fmac_f32_e32 v56, 0xbf737871, v8
	;; [unrolled: 1-line block ×4, first 2 shown]
	v_add_f32_e32 v4, v2, v6
	v_add_f32_e32 v4, v4, v10
	;; [unrolled: 1-line block ×3, first 2 shown]
	v_sub_f32_e32 v11, v9, v5
	v_sub_f32_e32 v12, v13, v25
	v_add_f32_e32 v36, v4, v26
	v_add_f32_e32 v4, v10, v14
	;; [unrolled: 1-line block ×3, first 2 shown]
	v_fma_f32 v4, -0.5, v4, v2
	v_fmac_f32_e32 v15, 0x3e9e377a, v11
	v_fmac_f32_e32 v56, 0x3e9e377a, v11
	v_sub_f32_e32 v5, v5, v25
	v_mov_b32_e32 v11, v4
	v_add_f32_e32 v0, v0, v9
	v_fmac_f32_e32 v11, 0x3f737871, v5
	v_sub_f32_e32 v8, v9, v13
	v_sub_f32_e32 v9, v6, v10
	;; [unrolled: 1-line block ×3, first 2 shown]
	v_fmac_f32_e32 v4, 0xbf737871, v5
	v_fmac_f32_e32 v11, 0x3f167918, v8
	v_add_f32_e32 v9, v9, v12
	v_fmac_f32_e32 v4, 0xbf167918, v8
	v_fmac_f32_e32 v11, 0x3e9e377a, v9
	;; [unrolled: 1-line block ×3, first 2 shown]
	v_add_f32_e32 v9, v6, v26
	v_fmac_f32_e32 v2, -0.5, v9
	v_add_f32_e32 v0, v0, v13
	v_mov_b32_e32 v13, v2
	v_fmac_f32_e32 v13, 0xbf737871, v8
	v_sub_f32_e32 v6, v10, v6
	v_sub_f32_e32 v9, v14, v26
	v_fmac_f32_e32 v2, 0x3f737871, v8
	v_fmac_f32_e32 v13, 0x3f167918, v5
	v_add_f32_e32 v6, v6, v9
	v_fmac_f32_e32 v2, 0xbf167918, v5
	v_fmac_f32_e32 v13, 0x3e9e377a, v6
	;; [unrolled: 1-line block ×3, first 2 shown]
	v_mul_f32_e32 v5, 0xbf167918, v11
	v_mul_f32_e32 v39, 0x3f4f1bbd, v11
	v_add_f32_e32 v0, v0, v25
	v_fmac_f32_e32 v5, 0x3f4f1bbd, v7
	v_mul_f32_e32 v6, 0xbf737871, v13
	v_mul_f32_e32 v37, 0xbf737871, v2
	;; [unrolled: 1-line block ×3, first 2 shown]
	v_fmac_f32_e32 v39, 0x3f167918, v7
	v_mul_f32_e32 v7, 0x3e9e377a, v13
	v_mul_f32_e32 v52, 0xbe9e377a, v2
	;; [unrolled: 1-line block ×3, first 2 shown]
	v_add_f32_e32 v8, v27, v0
	v_add_f32_e32 v10, v30, v5
	v_fmac_f32_e32 v6, 0x3e9e377a, v15
	v_fmac_f32_e32 v37, 0xbe9e377a, v56
	;; [unrolled: 1-line block ×3, first 2 shown]
	v_add_f32_e32 v9, v29, v36
	v_add_f32_e32 v11, v3, v39
	v_fmac_f32_e32 v7, 0x3f737871, v15
	v_fmac_f32_e32 v52, 0x3f737871, v56
	;; [unrolled: 1-line block ×3, first 2 shown]
	v_add_f32_e32 v12, v33, v6
	v_add_f32_e32 v14, v32, v37
	;; [unrolled: 1-line block ×6, first 2 shown]
	v_sub_f32_e32 v26, v27, v0
	v_sub_f32_e32 v0, v30, v5
	;; [unrolled: 1-line block ×6, first 2 shown]
	s_barrier
	ds_write2_b64 v105, v[8:9], v[10:11] offset1:40
	ds_write2_b64 v105, v[12:13], v[14:15] offset0:80 offset1:120
	ds_write2_b64 v105, v[24:25], v[26:27] offset0:160 offset1:200
	v_add_u32_e32 v8, 0x400, v105
	v_sub_f32_e32 v6, v32, v37
	v_sub_f32_e32 v4, v28, v38
	;; [unrolled: 1-line block ×4, first 2 shown]
	ds_write2_b64 v8, v[0:1], v[2:3] offset0:112 offset1:152
	v_add_u32_e32 v8, 0x800, v105
	ds_write2_b64 v8, v[6:7], v[4:5] offset0:64 offset1:104
	s_waitcnt lgkmcnt(0)
	s_barrier
	ds_read_b64 v[8:9], v99
	ds_read_b64 v[26:27], v99 offset:3200
	ds_read_b64 v[24:25], v99 offset:6400
	;; [unrolled: 1-line block ×5, first 2 shown]
	s_and_saveexec_b64 s[2:3], s[4:5]
	s_cbranch_execz .LBB0_19
; %bb.18:
	ds_read_b64 v[0:1], v99 offset:1920
	ds_read_b64 v[2:3], v99 offset:5120
	ds_read_b64 v[6:7], v99 offset:8320
	ds_read_b64 v[4:5], v99 offset:11520
	ds_read_b64 v[48:49], v99 offset:14720
	ds_read_b64 v[50:51], v99 offset:17920
.LBB0_19:
	s_or_b64 exec, exec, s[2:3]
	s_waitcnt lgkmcnt(4)
	v_mul_f32_e32 v28, v45, v27
	v_fmac_f32_e32 v28, v44, v26
	v_mul_f32_e32 v26, v45, v26
	v_fma_f32 v26, v44, v27, -v26
	s_waitcnt lgkmcnt(3)
	v_mul_f32_e32 v27, v47, v25
	v_fmac_f32_e32 v27, v46, v24
	v_mul_f32_e32 v24, v47, v24
	v_fma_f32 v24, v46, v25, -v24
	;; [unrolled: 5-line block ×5, first 2 shown]
	v_add_f32_e32 v11, v8, v27
	v_add_f32_e32 v29, v11, v15
	;; [unrolled: 1-line block ×3, first 2 shown]
	v_fma_f32 v8, -0.5, v11, v8
	v_sub_f32_e32 v11, v24, v12
	v_mov_b32_e32 v30, v8
	v_fmac_f32_e32 v30, 0xbf5db3d7, v11
	v_fmac_f32_e32 v8, 0x3f5db3d7, v11
	v_add_f32_e32 v11, v9, v24
	v_add_f32_e32 v31, v11, v12
	v_add_f32_e32 v11, v24, v12
	v_fmac_f32_e32 v9, -0.5, v11
	v_sub_f32_e32 v11, v27, v15
	v_mov_b32_e32 v27, v9
	v_fmac_f32_e32 v27, 0x3f5db3d7, v11
	v_fmac_f32_e32 v9, 0xbf5db3d7, v11
	v_add_f32_e32 v11, v28, v25
	v_add_f32_e32 v24, v11, v13
	v_add_f32_e32 v11, v25, v13
	v_fmac_f32_e32 v28, -0.5, v11
	;; [unrolled: 8-line block ×3, first 2 shown]
	v_sub_f32_e32 v10, v25, v13
	v_mov_b32_e32 v13, v26
	v_fmac_f32_e32 v13, 0x3f5db3d7, v10
	v_fmac_f32_e32 v26, 0xbf5db3d7, v10
	v_mul_f32_e32 v25, 0xbf5db3d7, v13
	v_mul_f32_e32 v33, 0xbf5db3d7, v26
	v_mul_f32_e32 v34, 0.5, v13
	v_mul_f32_e32 v35, -0.5, v26
	v_add_f32_e32 v10, v29, v24
	v_fmac_f32_e32 v25, 0.5, v15
	v_fmac_f32_e32 v33, -0.5, v28
	v_add_f32_e32 v11, v31, v32
	v_fmac_f32_e32 v34, 0x3f5db3d7, v15
	v_fmac_f32_e32 v35, 0x3f5db3d7, v28
	v_add_f32_e32 v12, v30, v25
	v_add_f32_e32 v14, v8, v33
	;; [unrolled: 1-line block ×4, first 2 shown]
	v_sub_f32_e32 v24, v29, v24
	v_sub_f32_e32 v26, v30, v25
	v_sub_f32_e32 v8, v8, v33
	v_sub_f32_e32 v25, v31, v32
	v_sub_f32_e32 v27, v27, v34
	v_sub_f32_e32 v9, v9, v35
	ds_write_b64 v99, v[10:11]
	ds_write_b64 v99, v[12:13] offset:3200
	ds_write_b64 v99, v[14:15] offset:6400
	;; [unrolled: 1-line block ×5, first 2 shown]
	s_and_saveexec_b64 s[2:3], s[4:5]
	s_cbranch_execz .LBB0_21
; %bb.20:
	v_mul_f32_e32 v14, v21, v5
	v_fmac_f32_e32 v14, v20, v4
	v_mul_f32_e32 v4, v21, v4
	v_mul_f32_e32 v8, v19, v6
	;; [unrolled: 1-line block ×4, first 2 shown]
	v_fma_f32 v5, v20, v5, -v4
	v_mul_f32_e32 v4, v86, v50
	v_fma_f32 v8, v18, v7, -v8
	v_fma_f32 v9, v22, v49, -v9
	v_mul_f32_e32 v7, v19, v7
	v_fmac_f32_e32 v13, v16, v2
	v_mul_f32_e32 v15, v86, v51
	v_fma_f32 v19, v85, v51, -v4
	v_mul_f32_e32 v2, v17, v2
	v_add_f32_e32 v10, v9, v8
	v_fmac_f32_e32 v15, v85, v50
	v_fma_f32 v3, v16, v3, -v2
	v_add_f32_e32 v2, v19, v5
	v_fma_f32 v10, -0.5, v10, v1
	v_fmac_f32_e32 v7, v18, v6
	v_mul_f32_e32 v11, v23, v49
	v_add_f32_e32 v18, v15, v14
	v_fma_f32 v16, -0.5, v2, v3
	v_add_f32_e32 v1, v8, v1
	v_fmac_f32_e32 v11, v22, v48
	v_fma_f32 v18, -0.5, v18, v13
	v_sub_f32_e32 v17, v14, v15
	v_mov_b32_e32 v21, v16
	v_add_f32_e32 v23, v9, v1
	v_add_f32_e32 v1, v3, v5
	v_sub_f32_e32 v4, v5, v19
	v_mov_b32_e32 v20, v18
	v_fmac_f32_e32 v21, 0xbf5db3d7, v17
	v_add_f32_e32 v19, v19, v1
	v_add_f32_e32 v1, v11, v7
	v_sub_f32_e32 v6, v7, v11
	v_mov_b32_e32 v12, v10
	v_fmac_f32_e32 v20, 0x3f5db3d7, v4
	v_mul_f32_e32 v22, -0.5, v21
	v_fmac_f32_e32 v16, 0x3f5db3d7, v17
	v_fma_f32 v24, -0.5, v1, v0
	v_add_f32_e32 v0, v0, v7
	v_add_f32_e32 v5, v13, v14
	v_fmac_f32_e32 v12, 0xbf5db3d7, v6
	v_fmac_f32_e32 v22, 0x3f5db3d7, v20
	;; [unrolled: 1-line block ×3, first 2 shown]
	v_mul_f32_e32 v17, 0.5, v16
	v_sub_f32_e32 v3, v8, v9
	v_mov_b32_e32 v9, v24
	v_mul_f32_e32 v21, 0xbf5db3d7, v21
	v_mul_f32_e32 v16, 0xbf5db3d7, v16
	v_add_f32_e32 v0, v11, v0
	v_add_f32_e32 v11, v15, v5
	v_sub_f32_e32 v2, v12, v22
	v_fmac_f32_e32 v10, 0x3f5db3d7, v6
	v_fmac_f32_e32 v17, 0x3f5db3d7, v18
	;; [unrolled: 1-line block ×3, first 2 shown]
	v_fmac_f32_e32 v21, -0.5, v20
	v_fmac_f32_e32 v24, 0xbf5db3d7, v3
	v_fmac_f32_e32 v16, 0.5, v18
	v_sub_f32_e32 v5, v0, v11
	v_add_f32_e32 v8, v12, v22
	v_add_f32_e32 v12, v19, v23
	;; [unrolled: 1-line block ×3, first 2 shown]
	v_sub_f32_e32 v4, v10, v17
	v_sub_f32_e32 v6, v23, v19
	;; [unrolled: 1-line block ×4, first 2 shown]
	v_add_f32_e32 v10, v10, v17
	v_add_f32_e32 v7, v9, v21
	;; [unrolled: 1-line block ×3, first 2 shown]
	ds_write_b64 v99, v[11:12] offset:1920
	ds_write_b64 v99, v[9:10] offset:5120
	;; [unrolled: 1-line block ×6, first 2 shown]
.LBB0_21:
	s_or_b64 exec, exec, s[2:3]
	s_waitcnt lgkmcnt(0)
	s_barrier
	ds_read2_b64 v[0:3], v99 offset1:240
	v_mad_u64_u32 v[8:9], s[2:3], s10, v72, 0
	s_mov_b32 s2, 0xb4e81b4f
	s_mov_b32 s3, 0x3f3b4e81
	s_waitcnt lgkmcnt(0)
	v_mul_f32_e32 v4, v82, v1
	v_fmac_f32_e32 v4, v81, v0
	v_cvt_f64_f32_e32 v[4:5], v4
	v_mul_f32_e32 v0, v82, v0
	v_fma_f32 v0, v81, v1, -v0
	v_cvt_f64_f32_e32 v[0:1], v0
	v_mul_f64 v[4:5], v[4:5], s[2:3]
	v_mad_u64_u32 v[10:11], s[4:5], s8, v100, 0
	v_mov_b32_e32 v6, v9
	v_mad_u64_u32 v[6:7], s[4:5], s11, v72, v[6:7]
	v_mul_f64 v[0:1], v[0:1], s[2:3]
	v_cvt_f32_f64_e32 v12, v[4:5]
	v_mov_b32_e32 v4, v11
	v_mad_u64_u32 v[14:15], s[4:5], s9, v100, v[4:5]
	v_add_u32_e32 v4, 0x1280, v99
	v_mov_b32_e32 v9, v6
	ds_read2_b64 v[4:7], v4 offset0:8 offset1:248
	v_cvt_f32_f64_e32 v13, v[0:1]
	v_lshlrev_b64 v[0:1], 3, v[8:9]
	v_mov_b32_e32 v11, v14
	v_mov_b32_e32 v14, s7
	s_waitcnt lgkmcnt(0)
	v_mul_f32_e32 v8, v80, v5
	v_fmac_f32_e32 v8, v79, v4
	v_mul_f32_e32 v4, v80, v4
	v_fma_f32 v4, v79, v5, -v4
	v_cvt_f64_f32_e32 v[8:9], v8
	v_cvt_f64_f32_e32 v[4:5], v4
	v_add_co_u32_e32 v15, vcc, s6, v0
	v_addc_co_u32_e32 v14, vcc, v14, v1, vcc
	v_mul_f64 v[0:1], v[8:9], s[2:3]
	v_mul_f64 v[4:5], v[4:5], s[2:3]
	v_lshlrev_b64 v[8:9], 3, v[10:11]
	s_mul_i32 s4, s9, 0x258
	v_add_co_u32_e32 v16, vcc, v15, v8
	v_addc_co_u32_e32 v17, vcc, v14, v9, vcc
	v_cvt_f32_f64_e32 v0, v[0:1]
	v_cvt_f32_f64_e32 v1, v[4:5]
	v_add_u32_e32 v4, 0x2580, v99
	ds_read2_b64 v[8:11], v4 offset1:240
	global_store_dwordx2 v[16:17], v[12:13], off
	v_add_u32_e32 v12, 0x3800, v99
	s_mul_hi_u32 s5, s8, 0x258
	ds_read2_b64 v[12:15], v12 offset0:8 offset1:248
	s_waitcnt lgkmcnt(1)
	v_mul_f32_e32 v4, v78, v9
	v_fmac_f32_e32 v4, v77, v8
	v_mul_f32_e32 v8, v78, v8
	v_fma_f32 v8, v77, v9, -v8
	v_cvt_f64_f32_e32 v[4:5], v4
	v_cvt_f64_f32_e32 v[8:9], v8
	s_add_i32 s5, s5, s4
	s_mul_i32 s4, s8, 0x258
	v_mul_f64 v[4:5], v[4:5], s[2:3]
	v_mul_f64 v[8:9], v[8:9], s[2:3]
	s_lshl_b64 s[4:5], s[4:5], 3
	v_mov_b32_e32 v18, s5
	v_add_co_u32_e32 v16, vcc, s4, v16
	v_addc_co_u32_e32 v17, vcc, v17, v18, vcc
	global_store_dwordx2 v[16:17], v[0:1], off
	v_cvt_f32_f64_e32 v0, v[4:5]
	v_cvt_f32_f64_e32 v1, v[8:9]
	s_waitcnt lgkmcnt(0)
	v_mul_f32_e32 v4, v74, v13
	v_mul_f32_e32 v8, v74, v12
	v_fmac_f32_e32 v4, v73, v12
	v_fma_f32 v8, v73, v13, -v8
	v_cvt_f64_f32_e32 v[4:5], v4
	v_cvt_f64_f32_e32 v[8:9], v8
	v_add_co_u32_e32 v12, vcc, s4, v16
	v_mul_f32_e32 v16, v76, v3
	v_fmac_f32_e32 v16, v75, v2
	v_mul_f32_e32 v2, v76, v2
	v_fma_f32 v2, v75, v3, -v2
	v_mul_f64 v[4:5], v[4:5], s[2:3]
	v_mul_f64 v[8:9], v[8:9], s[2:3]
	v_cvt_f64_f32_e32 v[2:3], v2
	v_addc_co_u32_e32 v13, vcc, v17, v18, vcc
	v_cvt_f64_f32_e32 v[16:17], v16
	v_mul_f64 v[2:3], v[2:3], s[2:3]
	global_store_dwordx2 v[12:13], v[0:1], off
	v_cvt_f32_f64_e32 v0, v[4:5]
	v_cvt_f32_f64_e32 v1, v[8:9]
	v_mul_f64 v[4:5], v[16:17], s[2:3]
	v_add_co_u32_e32 v8, vcc, s4, v12
	v_addc_co_u32_e32 v9, vcc, v13, v18, vcc
	global_store_dwordx2 v[8:9], v[0:1], off
	v_cvt_f32_f64_e32 v1, v[2:3]
	v_mul_f32_e32 v2, v71, v7
	v_fmac_f32_e32 v2, v70, v6
	v_cvt_f64_f32_e32 v[2:3], v2
	v_cvt_f32_f64_e32 v0, v[4:5]
	v_mul_f32_e32 v4, v71, v6
	v_fma_f32 v4, v70, v7, -v4
	v_mul_f64 v[2:3], v[2:3], s[2:3]
	s_mul_hi_u32 s7, s8, 0xfffff9e8
	v_cvt_f64_f32_e32 v[4:5], v4
	s_mul_i32 s6, s9, 0xfffff9e8
	s_sub_i32 s7, s7, s8
	s_add_i32 s7, s7, s6
	s_mul_i32 s6, s8, 0xfffff9e8
	s_lshl_b64 s[6:7], s[6:7], 3
	v_mul_f64 v[4:5], v[4:5], s[2:3]
	v_mov_b32_e32 v7, s7
	v_add_co_u32_e32 v6, vcc, s6, v8
	v_addc_co_u32_e32 v7, vcc, v9, v7, vcc
	global_store_dwordx2 v[6:7], v[0:1], off
	v_cvt_f32_f64_e32 v0, v[2:3]
	v_mul_f32_e32 v2, v69, v11
	v_fmac_f32_e32 v2, v68, v10
	v_cvt_f64_f32_e32 v[2:3], v2
	v_cvt_f32_f64_e32 v1, v[4:5]
	v_mul_f32_e32 v4, v69, v10
	v_fma_f32 v4, v68, v11, -v4
	v_mul_f64 v[2:3], v[2:3], s[2:3]
	v_cvt_f64_f32_e32 v[4:5], v4
	v_mul_f32_e32 v8, v67, v15
	v_mul_f32_e32 v10, v67, v14
	v_fmac_f32_e32 v8, v66, v14
	v_fma_f32 v10, v66, v15, -v10
	v_cvt_f64_f32_e32 v[8:9], v8
	v_cvt_f64_f32_e32 v[10:11], v10
	v_add_co_u32_e32 v6, vcc, s4, v6
	v_mul_f64 v[4:5], v[4:5], s[2:3]
	v_addc_co_u32_e32 v7, vcc, v7, v18, vcc
	global_store_dwordx2 v[6:7], v[0:1], off
	v_cvt_f32_f64_e32 v0, v[2:3]
	v_mul_f64 v[2:3], v[8:9], s[2:3]
	v_mul_f64 v[8:9], v[10:11], s[2:3]
	v_cvt_f32_f64_e32 v1, v[4:5]
	v_add_co_u32_e32 v4, vcc, s4, v6
	v_addc_co_u32_e32 v5, vcc, v7, v18, vcc
	v_cvt_f32_f64_e32 v2, v[2:3]
	v_cvt_f32_f64_e32 v3, v[8:9]
	global_store_dwordx2 v[4:5], v[0:1], off
	v_add_co_u32_e32 v0, vcc, s4, v4
	v_addc_co_u32_e32 v1, vcc, v5, v18, vcc
	global_store_dwordx2 v[0:1], v[2:3], off
	s_and_b64 exec, exec, s[0:1]
	s_cbranch_execz .LBB0_23
; %bb.22:
	s_movk_i32 s0, 0x2000
	v_add_co_u32_e32 v4, vcc, s0, v64
	v_addc_co_u32_e32 v5, vcc, 0, v65, vcc
	s_movk_i32 s0, 0x3000
	v_add_co_u32_e32 v6, vcc, s0, v64
	global_load_dwordx2 v[2:3], v[64:65], off offset:3840
	v_addc_co_u32_e32 v7, vcc, 0, v65, vcc
	s_movk_i32 s0, 0x4000
	global_load_dwordx2 v[8:9], v[4:5], off offset:448
	global_load_dwordx2 v[10:11], v[6:7], off offset:1152
	v_add_co_u32_e32 v4, vcc, s0, v64
	v_addc_co_u32_e32 v5, vcc, 0, v65, vcc
	global_load_dwordx2 v[4:5], v[4:5], off offset:1856
	ds_read_b64 v[6:7], v99 offset:3840
	ds_read_b64 v[12:13], v99 offset:8640
	;; [unrolled: 1-line block ×4, first 2 shown]
	v_mov_b32_e32 v18, s7
	v_add_co_u32_e32 v0, vcc, s6, v0
	v_addc_co_u32_e32 v1, vcc, v1, v18, vcc
	v_mov_b32_e32 v23, s5
	v_add_co_u32_e32 v18, vcc, s4, v0
	v_addc_co_u32_e32 v19, vcc, v1, v23, vcc
	v_add_co_u32_e32 v20, vcc, s4, v18
	v_addc_co_u32_e32 v21, vcc, v19, v23, vcc
	;; [unrolled: 2-line block ×3, first 2 shown]
	s_waitcnt vmcnt(3) lgkmcnt(3)
	v_mul_f32_e32 v24, v7, v3
	v_mul_f32_e32 v3, v6, v3
	v_fmac_f32_e32 v24, v6, v2
	v_fma_f32 v6, v2, v7, -v3
	v_cvt_f64_f32_e32 v[2:3], v24
	s_waitcnt vmcnt(2) lgkmcnt(2)
	v_mul_f32_e32 v24, v13, v9
	v_mul_f32_e32 v9, v12, v9
	v_cvt_f64_f32_e32 v[6:7], v6
	s_waitcnt vmcnt(1) lgkmcnt(1)
	v_mul_f32_e32 v25, v15, v11
	v_mul_f32_e32 v11, v14, v11
	s_waitcnt vmcnt(0) lgkmcnt(0)
	v_mul_f32_e32 v26, v17, v5
	v_mul_f32_e32 v5, v16, v5
	v_fmac_f32_e32 v24, v12, v8
	v_fma_f32 v8, v8, v13, -v9
	v_fmac_f32_e32 v25, v14, v10
	v_fma_f32 v12, v10, v15, -v11
	;; [unrolled: 2-line block ×3, first 2 shown]
	v_cvt_f64_f32_e32 v[4:5], v24
	v_cvt_f64_f32_e32 v[8:9], v8
	v_cvt_f64_f32_e32 v[10:11], v25
	v_cvt_f64_f32_e32 v[12:13], v12
	v_cvt_f64_f32_e32 v[14:15], v26
	v_cvt_f64_f32_e32 v[16:17], v16
	v_mul_f64 v[2:3], v[2:3], s[2:3]
	v_mul_f64 v[6:7], v[6:7], s[2:3]
	;; [unrolled: 1-line block ×8, first 2 shown]
	v_cvt_f32_f64_e32 v2, v[2:3]
	v_cvt_f32_f64_e32 v3, v[6:7]
	;; [unrolled: 1-line block ×8, first 2 shown]
	global_store_dwordx2 v[0:1], v[2:3], off
	global_store_dwordx2 v[18:19], v[4:5], off
	global_store_dwordx2 v[20:21], v[6:7], off
	global_store_dwordx2 v[22:23], v[8:9], off
.LBB0_23:
	s_endpgm
	.section	.rodata,"a",@progbits
	.p2align	6, 0x0
	.amdhsa_kernel bluestein_single_fwd_len2400_dim1_sp_op_CI_CI
		.amdhsa_group_segment_fixed_size 19200
		.amdhsa_private_segment_fixed_size 0
		.amdhsa_kernarg_size 104
		.amdhsa_user_sgpr_count 6
		.amdhsa_user_sgpr_private_segment_buffer 1
		.amdhsa_user_sgpr_dispatch_ptr 0
		.amdhsa_user_sgpr_queue_ptr 0
		.amdhsa_user_sgpr_kernarg_segment_ptr 1
		.amdhsa_user_sgpr_dispatch_id 0
		.amdhsa_user_sgpr_flat_scratch_init 0
		.amdhsa_user_sgpr_private_segment_size 0
		.amdhsa_uses_dynamic_stack 0
		.amdhsa_system_sgpr_private_segment_wavefront_offset 0
		.amdhsa_system_sgpr_workgroup_id_x 1
		.amdhsa_system_sgpr_workgroup_id_y 0
		.amdhsa_system_sgpr_workgroup_id_z 0
		.amdhsa_system_sgpr_workgroup_info 0
		.amdhsa_system_vgpr_workitem_id 0
		.amdhsa_next_free_vgpr 126
		.amdhsa_next_free_sgpr 20
		.amdhsa_reserve_vcc 1
		.amdhsa_reserve_flat_scratch 0
		.amdhsa_float_round_mode_32 0
		.amdhsa_float_round_mode_16_64 0
		.amdhsa_float_denorm_mode_32 3
		.amdhsa_float_denorm_mode_16_64 3
		.amdhsa_dx10_clamp 1
		.amdhsa_ieee_mode 1
		.amdhsa_fp16_overflow 0
		.amdhsa_exception_fp_ieee_invalid_op 0
		.amdhsa_exception_fp_denorm_src 0
		.amdhsa_exception_fp_ieee_div_zero 0
		.amdhsa_exception_fp_ieee_overflow 0
		.amdhsa_exception_fp_ieee_underflow 0
		.amdhsa_exception_fp_ieee_inexact 0
		.amdhsa_exception_int_div_zero 0
	.end_amdhsa_kernel
	.text
.Lfunc_end0:
	.size	bluestein_single_fwd_len2400_dim1_sp_op_CI_CI, .Lfunc_end0-bluestein_single_fwd_len2400_dim1_sp_op_CI_CI
                                        ; -- End function
	.section	.AMDGPU.csdata,"",@progbits
; Kernel info:
; codeLenInByte = 10944
; NumSgprs: 24
; NumVgprs: 126
; ScratchSize: 0
; MemoryBound: 0
; FloatMode: 240
; IeeeMode: 1
; LDSByteSize: 19200 bytes/workgroup (compile time only)
; SGPRBlocks: 2
; VGPRBlocks: 31
; NumSGPRsForWavesPerEU: 24
; NumVGPRsForWavesPerEU: 126
; Occupancy: 2
; WaveLimiterHint : 1
; COMPUTE_PGM_RSRC2:SCRATCH_EN: 0
; COMPUTE_PGM_RSRC2:USER_SGPR: 6
; COMPUTE_PGM_RSRC2:TRAP_HANDLER: 0
; COMPUTE_PGM_RSRC2:TGID_X_EN: 1
; COMPUTE_PGM_RSRC2:TGID_Y_EN: 0
; COMPUTE_PGM_RSRC2:TGID_Z_EN: 0
; COMPUTE_PGM_RSRC2:TIDIG_COMP_CNT: 0
	.type	__hip_cuid_2caf593142822e96,@object ; @__hip_cuid_2caf593142822e96
	.section	.bss,"aw",@nobits
	.globl	__hip_cuid_2caf593142822e96
__hip_cuid_2caf593142822e96:
	.byte	0                               ; 0x0
	.size	__hip_cuid_2caf593142822e96, 1

	.ident	"AMD clang version 19.0.0git (https://github.com/RadeonOpenCompute/llvm-project roc-6.4.0 25133 c7fe45cf4b819c5991fe208aaa96edf142730f1d)"
	.section	".note.GNU-stack","",@progbits
	.addrsig
	.addrsig_sym __hip_cuid_2caf593142822e96
	.amdgpu_metadata
---
amdhsa.kernels:
  - .args:
      - .actual_access:  read_only
        .address_space:  global
        .offset:         0
        .size:           8
        .value_kind:     global_buffer
      - .actual_access:  read_only
        .address_space:  global
        .offset:         8
        .size:           8
        .value_kind:     global_buffer
      - .actual_access:  read_only
        .address_space:  global
        .offset:         16
        .size:           8
        .value_kind:     global_buffer
      - .actual_access:  read_only
        .address_space:  global
        .offset:         24
        .size:           8
        .value_kind:     global_buffer
      - .actual_access:  read_only
        .address_space:  global
        .offset:         32
        .size:           8
        .value_kind:     global_buffer
      - .offset:         40
        .size:           8
        .value_kind:     by_value
      - .address_space:  global
        .offset:         48
        .size:           8
        .value_kind:     global_buffer
      - .address_space:  global
        .offset:         56
        .size:           8
        .value_kind:     global_buffer
      - .address_space:  global
        .offset:         64
        .size:           8
        .value_kind:     global_buffer
      - .address_space:  global
        .offset:         72
        .size:           8
        .value_kind:     global_buffer
      - .offset:         80
        .size:           4
        .value_kind:     by_value
      - .address_space:  global
        .offset:         88
        .size:           8
        .value_kind:     global_buffer
      - .address_space:  global
        .offset:         96
        .size:           8
        .value_kind:     global_buffer
    .group_segment_fixed_size: 19200
    .kernarg_segment_align: 8
    .kernarg_segment_size: 104
    .language:       OpenCL C
    .language_version:
      - 2
      - 0
    .max_flat_workgroup_size: 240
    .name:           bluestein_single_fwd_len2400_dim1_sp_op_CI_CI
    .private_segment_fixed_size: 0
    .sgpr_count:     24
    .sgpr_spill_count: 0
    .symbol:         bluestein_single_fwd_len2400_dim1_sp_op_CI_CI.kd
    .uniform_work_group_size: 1
    .uses_dynamic_stack: false
    .vgpr_count:     126
    .vgpr_spill_count: 0
    .wavefront_size: 64
amdhsa.target:   amdgcn-amd-amdhsa--gfx906
amdhsa.version:
  - 1
  - 2
...

	.end_amdgpu_metadata
